;; amdgpu-corpus repo=ROCm/rocFFT kind=compiled arch=gfx906 opt=O3
	.text
	.amdgcn_target "amdgcn-amd-amdhsa--gfx906"
	.amdhsa_code_object_version 6
	.protected	fft_rtc_fwd_len2000_factors_5_5_5_16_wgs_125_tpt_125_halfLds_sp_op_CI_CI_unitstride_sbrr_dirReg ; -- Begin function fft_rtc_fwd_len2000_factors_5_5_5_16_wgs_125_tpt_125_halfLds_sp_op_CI_CI_unitstride_sbrr_dirReg
	.globl	fft_rtc_fwd_len2000_factors_5_5_5_16_wgs_125_tpt_125_halfLds_sp_op_CI_CI_unitstride_sbrr_dirReg
	.p2align	8
	.type	fft_rtc_fwd_len2000_factors_5_5_5_16_wgs_125_tpt_125_halfLds_sp_op_CI_CI_unitstride_sbrr_dirReg,@function
fft_rtc_fwd_len2000_factors_5_5_5_16_wgs_125_tpt_125_halfLds_sp_op_CI_CI_unitstride_sbrr_dirReg: ; @fft_rtc_fwd_len2000_factors_5_5_5_16_wgs_125_tpt_125_halfLds_sp_op_CI_CI_unitstride_sbrr_dirReg
; %bb.0:
	s_load_dwordx4 s[8:11], s[4:5], 0x58
	s_load_dwordx4 s[12:15], s[4:5], 0x0
	;; [unrolled: 1-line block ×3, first 2 shown]
	v_mul_u32_u24_e32 v1, 0x20d, v0
	v_mov_b32_e32 v5, 0
	v_mov_b32_e32 v8, 0
	s_waitcnt lgkmcnt(0)
	v_cmp_lt_u64_e64 s[0:1], s[14:15], 2
	v_add_u32_sdwa v10, s6, v1 dst_sel:DWORD dst_unused:UNUSED_PAD src0_sel:DWORD src1_sel:WORD_1
	v_mov_b32_e32 v11, v5
	s_and_b64 vcc, exec, s[0:1]
	v_mov_b32_e32 v9, 0
	s_cbranch_vccnz .LBB0_8
; %bb.1:
	s_load_dwordx2 s[0:1], s[4:5], 0x10
	s_add_u32 s2, s18, 8
	s_addc_u32 s3, s19, 0
	s_add_u32 s6, s16, 8
	s_addc_u32 s7, s17, 0
	v_mov_b32_e32 v8, 0
	s_waitcnt lgkmcnt(0)
	s_add_u32 s20, s0, 8
	v_mov_b32_e32 v9, 0
	v_mov_b32_e32 v1, v8
	s_addc_u32 s21, s1, 0
	s_mov_b64 s[22:23], 1
	v_mov_b32_e32 v2, v9
.LBB0_2:                                ; =>This Inner Loop Header: Depth=1
	s_load_dwordx2 s[24:25], s[20:21], 0x0
                                        ; implicit-def: $vgpr3_vgpr4
	s_waitcnt lgkmcnt(0)
	v_or_b32_e32 v6, s25, v11
	v_cmp_ne_u64_e32 vcc, 0, v[5:6]
	s_and_saveexec_b64 s[0:1], vcc
	s_xor_b64 s[26:27], exec, s[0:1]
	s_cbranch_execz .LBB0_4
; %bb.3:                                ;   in Loop: Header=BB0_2 Depth=1
	v_cvt_f32_u32_e32 v3, s24
	v_cvt_f32_u32_e32 v4, s25
	s_sub_u32 s0, 0, s24
	s_subb_u32 s1, 0, s25
	v_mac_f32_e32 v3, 0x4f800000, v4
	v_rcp_f32_e32 v3, v3
	v_mul_f32_e32 v3, 0x5f7ffffc, v3
	v_mul_f32_e32 v4, 0x2f800000, v3
	v_trunc_f32_e32 v4, v4
	v_mac_f32_e32 v3, 0xcf800000, v4
	v_cvt_u32_f32_e32 v4, v4
	v_cvt_u32_f32_e32 v3, v3
	v_mul_lo_u32 v6, s0, v4
	v_mul_hi_u32 v7, s0, v3
	v_mul_lo_u32 v13, s1, v3
	v_mul_lo_u32 v12, s0, v3
	v_add_u32_e32 v6, v7, v6
	v_add_u32_e32 v6, v6, v13
	v_mul_hi_u32 v7, v3, v12
	v_mul_lo_u32 v13, v3, v6
	v_mul_hi_u32 v15, v3, v6
	v_mul_hi_u32 v14, v4, v12
	v_mul_lo_u32 v12, v4, v12
	v_mul_hi_u32 v16, v4, v6
	v_add_co_u32_e32 v7, vcc, v7, v13
	v_addc_co_u32_e32 v13, vcc, 0, v15, vcc
	v_mul_lo_u32 v6, v4, v6
	v_add_co_u32_e32 v7, vcc, v7, v12
	v_addc_co_u32_e32 v7, vcc, v13, v14, vcc
	v_addc_co_u32_e32 v12, vcc, 0, v16, vcc
	v_add_co_u32_e32 v6, vcc, v7, v6
	v_addc_co_u32_e32 v7, vcc, 0, v12, vcc
	v_add_co_u32_e32 v3, vcc, v3, v6
	v_addc_co_u32_e32 v4, vcc, v4, v7, vcc
	v_mul_lo_u32 v6, s0, v4
	v_mul_hi_u32 v7, s0, v3
	v_mul_lo_u32 v12, s1, v3
	v_mul_lo_u32 v13, s0, v3
	v_add_u32_e32 v6, v7, v6
	v_add_u32_e32 v6, v6, v12
	v_mul_lo_u32 v14, v3, v6
	v_mul_hi_u32 v15, v3, v13
	v_mul_hi_u32 v16, v3, v6
	v_mul_hi_u32 v12, v4, v13
	v_mul_lo_u32 v13, v4, v13
	v_mul_hi_u32 v7, v4, v6
	v_add_co_u32_e32 v14, vcc, v15, v14
	v_addc_co_u32_e32 v15, vcc, 0, v16, vcc
	v_mul_lo_u32 v6, v4, v6
	v_add_co_u32_e32 v13, vcc, v14, v13
	v_addc_co_u32_e32 v12, vcc, v15, v12, vcc
	v_addc_co_u32_e32 v7, vcc, 0, v7, vcc
	v_add_co_u32_e32 v6, vcc, v12, v6
	v_addc_co_u32_e32 v7, vcc, 0, v7, vcc
	v_add_co_u32_e32 v6, vcc, v3, v6
	v_addc_co_u32_e32 v7, vcc, v4, v7, vcc
	v_mad_u64_u32 v[3:4], s[0:1], v10, v7, 0
	v_mul_hi_u32 v12, v10, v6
	v_add_co_u32_e32 v12, vcc, v12, v3
	v_addc_co_u32_e32 v13, vcc, 0, v4, vcc
	v_mad_u64_u32 v[3:4], s[0:1], v11, v6, 0
	v_mad_u64_u32 v[6:7], s[0:1], v11, v7, 0
	v_add_co_u32_e32 v3, vcc, v12, v3
	v_addc_co_u32_e32 v3, vcc, v13, v4, vcc
	v_addc_co_u32_e32 v4, vcc, 0, v7, vcc
	v_add_co_u32_e32 v6, vcc, v3, v6
	v_addc_co_u32_e32 v7, vcc, 0, v4, vcc
	v_mul_lo_u32 v12, s25, v6
	v_mul_lo_u32 v13, s24, v7
	v_mad_u64_u32 v[3:4], s[0:1], s24, v6, 0
	v_add3_u32 v4, v4, v13, v12
	v_sub_u32_e32 v12, v11, v4
	v_mov_b32_e32 v13, s25
	v_sub_co_u32_e32 v3, vcc, v10, v3
	v_subb_co_u32_e64 v12, s[0:1], v12, v13, vcc
	v_subrev_co_u32_e64 v13, s[0:1], s24, v3
	v_subbrev_co_u32_e64 v12, s[0:1], 0, v12, s[0:1]
	v_cmp_le_u32_e64 s[0:1], s25, v12
	v_cndmask_b32_e64 v14, 0, -1, s[0:1]
	v_cmp_le_u32_e64 s[0:1], s24, v13
	v_cndmask_b32_e64 v13, 0, -1, s[0:1]
	v_cmp_eq_u32_e64 s[0:1], s25, v12
	v_cndmask_b32_e64 v12, v14, v13, s[0:1]
	v_add_co_u32_e64 v13, s[0:1], 2, v6
	v_addc_co_u32_e64 v14, s[0:1], 0, v7, s[0:1]
	v_add_co_u32_e64 v15, s[0:1], 1, v6
	v_addc_co_u32_e64 v16, s[0:1], 0, v7, s[0:1]
	v_subb_co_u32_e32 v4, vcc, v11, v4, vcc
	v_cmp_ne_u32_e64 s[0:1], 0, v12
	v_cmp_le_u32_e32 vcc, s25, v4
	v_cndmask_b32_e64 v12, v16, v14, s[0:1]
	v_cndmask_b32_e64 v14, 0, -1, vcc
	v_cmp_le_u32_e32 vcc, s24, v3
	v_cndmask_b32_e64 v3, 0, -1, vcc
	v_cmp_eq_u32_e32 vcc, s25, v4
	v_cndmask_b32_e32 v3, v14, v3, vcc
	v_cmp_ne_u32_e32 vcc, 0, v3
	v_cndmask_b32_e64 v3, v15, v13, s[0:1]
	v_cndmask_b32_e32 v4, v7, v12, vcc
	v_cndmask_b32_e32 v3, v6, v3, vcc
.LBB0_4:                                ;   in Loop: Header=BB0_2 Depth=1
	s_andn2_saveexec_b64 s[0:1], s[26:27]
	s_cbranch_execz .LBB0_6
; %bb.5:                                ;   in Loop: Header=BB0_2 Depth=1
	v_cvt_f32_u32_e32 v3, s24
	s_sub_i32 s26, 0, s24
	v_rcp_iflag_f32_e32 v3, v3
	v_mul_f32_e32 v3, 0x4f7ffffe, v3
	v_cvt_u32_f32_e32 v3, v3
	v_mul_lo_u32 v4, s26, v3
	v_mul_hi_u32 v4, v3, v4
	v_add_u32_e32 v3, v3, v4
	v_mul_hi_u32 v3, v10, v3
	v_mul_lo_u32 v4, v3, s24
	v_add_u32_e32 v6, 1, v3
	v_sub_u32_e32 v4, v10, v4
	v_subrev_u32_e32 v7, s24, v4
	v_cmp_le_u32_e32 vcc, s24, v4
	v_cndmask_b32_e32 v4, v4, v7, vcc
	v_cndmask_b32_e32 v3, v3, v6, vcc
	v_add_u32_e32 v6, 1, v3
	v_cmp_le_u32_e32 vcc, s24, v4
	v_cndmask_b32_e32 v3, v3, v6, vcc
	v_mov_b32_e32 v4, v5
.LBB0_6:                                ;   in Loop: Header=BB0_2 Depth=1
	s_or_b64 exec, exec, s[0:1]
	v_mul_lo_u32 v12, v4, s24
	v_mul_lo_u32 v13, v3, s25
	v_mad_u64_u32 v[6:7], s[0:1], v3, s24, 0
	s_load_dwordx2 s[0:1], s[6:7], 0x0
	s_load_dwordx2 s[24:25], s[2:3], 0x0
	v_add3_u32 v7, v7, v13, v12
	v_sub_co_u32_e32 v6, vcc, v10, v6
	v_subb_co_u32_e32 v7, vcc, v11, v7, vcc
	s_waitcnt lgkmcnt(0)
	v_mul_lo_u32 v10, s0, v7
	v_mul_lo_u32 v11, s1, v6
	v_mad_u64_u32 v[8:9], s[0:1], s0, v6, v[8:9]
	v_mul_lo_u32 v7, s24, v7
	v_mul_lo_u32 v12, s25, v6
	v_mad_u64_u32 v[1:2], s[0:1], s24, v6, v[1:2]
	s_add_u32 s22, s22, 1
	s_addc_u32 s23, s23, 0
	s_add_u32 s2, s2, 8
	v_add3_u32 v2, v12, v2, v7
	s_addc_u32 s3, s3, 0
	v_mov_b32_e32 v6, s14
	s_add_u32 s6, s6, 8
	v_mov_b32_e32 v7, s15
	s_addc_u32 s7, s7, 0
	v_cmp_ge_u64_e32 vcc, s[22:23], v[6:7]
	s_add_u32 s20, s20, 8
	v_add3_u32 v9, v11, v9, v10
	s_addc_u32 s21, s21, 0
	s_cbranch_vccnz .LBB0_9
; %bb.7:                                ;   in Loop: Header=BB0_2 Depth=1
	v_mov_b32_e32 v11, v4
	v_mov_b32_e32 v10, v3
	s_branch .LBB0_2
.LBB0_8:
	v_mov_b32_e32 v1, v8
	v_mov_b32_e32 v3, v10
	;; [unrolled: 1-line block ×4, first 2 shown]
.LBB0_9:
	s_load_dwordx2 s[4:5], s[4:5], 0x28
	s_lshl_b64 s[6:7], s[14:15], 3
	s_add_u32 s2, s18, s6
	s_addc_u32 s3, s19, s7
                                        ; implicit-def: $sgpr14
                                        ; implicit-def: $vgpr59
	s_waitcnt lgkmcnt(0)
	v_cmp_gt_u64_e64 s[0:1], s[4:5], v[3:4]
	v_cmp_le_u64_e32 vcc, s[4:5], v[3:4]
	s_and_saveexec_b64 s[4:5], vcc
	s_xor_b64 s[4:5], exec, s[4:5]
; %bb.10:
	s_mov_b32 s14, 0x20c49bb
	v_mul_hi_u32 v5, v0, s14
	s_mov_b32 s14, 0
                                        ; implicit-def: $vgpr8_vgpr9
	v_mul_u32_u24_e32 v5, 0x7d, v5
	v_sub_u32_e32 v59, v0, v5
                                        ; implicit-def: $vgpr0
; %bb.11:
	s_or_saveexec_b64 s[4:5], s[4:5]
	s_load_dwordx2 s[2:3], s[2:3], 0x0
	v_mov_b32_e32 v5, s14
                                        ; implicit-def: $vgpr10
                                        ; implicit-def: $vgpr48
                                        ; implicit-def: $vgpr42
                                        ; implicit-def: $vgpr44
                                        ; implicit-def: $vgpr46
                                        ; implicit-def: $vgpr12
                                        ; implicit-def: $vgpr34
                                        ; implicit-def: $vgpr36
                                        ; implicit-def: $vgpr38
                                        ; implicit-def: $vgpr40
                                        ; implicit-def: $vgpr16
                                        ; implicit-def: $vgpr18
                                        ; implicit-def: $vgpr22
                                        ; implicit-def: $vgpr20
                                        ; implicit-def: $vgpr24
                                        ; implicit-def: $vgpr32
                                        ; implicit-def: $vgpr30
                                        ; implicit-def: $vgpr28
                                        ; implicit-def: $vgpr26
                                        ; implicit-def: $vgpr7
	s_xor_b64 exec, exec, s[4:5]
	s_cbranch_execz .LBB0_15
; %bb.12:
	s_add_u32 s6, s16, s6
	s_addc_u32 s7, s17, s7
	s_load_dwordx2 s[6:7], s[6:7], 0x0
	s_mov_b32 s14, 0x20c49bb
	v_mul_hi_u32 v7, v0, s14
                                        ; implicit-def: $vgpr27
                                        ; implicit-def: $vgpr29
                                        ; implicit-def: $vgpr31
	s_waitcnt lgkmcnt(0)
	v_mul_lo_u32 v10, s7, v3
	v_mul_lo_u32 v11, s6, v4
	v_mad_u64_u32 v[5:6], s[6:7], s6, v3, 0
	v_mul_u32_u24_e32 v7, 0x7d, v7
	v_sub_u32_e32 v59, v0, v7
	v_add3_u32 v6, v6, v11, v10
	v_lshlrev_b64 v[5:6], 3, v[5:6]
	v_mov_b32_e32 v0, s9
	v_add_co_u32_e32 v7, vcc, s8, v5
	v_addc_co_u32_e32 v0, vcc, v0, v6, vcc
	v_lshlrev_b64 v[5:6], 3, v[8:9]
	s_movk_i32 s6, 0x1000
	v_add_co_u32_e32 v5, vcc, v7, v5
	v_addc_co_u32_e32 v0, vcc, v0, v6, vcc
	v_lshlrev_b32_e32 v6, 3, v59
	v_add_co_u32_e32 v13, vcc, v5, v6
	v_addc_co_u32_e32 v14, vcc, 0, v0, vcc
	v_add_co_u32_e32 v5, vcc, s6, v13
	v_addc_co_u32_e32 v6, vcc, 0, v14, vcc
	s_movk_i32 s6, 0x2000
	v_add_co_u32_e32 v7, vcc, s6, v13
	v_addc_co_u32_e32 v8, vcc, 0, v14, vcc
	s_movk_i32 s6, 0x3000
	v_add_co_u32_e32 v25, vcc, s6, v13
	v_addc_co_u32_e32 v26, vcc, 0, v14, vcc
	global_load_dwordx2 v[33:34], v[5:6], off offset:104
	global_load_dwordx2 v[35:36], v[5:6], off offset:3304
	;; [unrolled: 1-line block ×11, first 2 shown]
	global_load_dwordx2 v[9:10], v[13:14], off
	global_load_dwordx2 v[11:12], v[13:14], off offset:1000
	global_load_dwordx2 v[47:48], v[13:14], off offset:3200
	;; [unrolled: 1-line block ×3, first 2 shown]
	v_cmp_gt_u32_e32 vcc, 25, v59
                                        ; implicit-def: $vgpr6
                                        ; implicit-def: $vgpr25
	s_and_saveexec_b64 s[6:7], vcc
	s_cbranch_execz .LBB0_14
; %bb.13:
	v_add_co_u32_e32 v49, vcc, 0x1000, v13
	v_addc_co_u32_e32 v50, vcc, 0, v14, vcc
	v_add_co_u32_e32 v51, vcc, 0x2000, v13
	v_addc_co_u32_e32 v52, vcc, 0, v14, vcc
	;; [unrolled: 2-line block ×3, first 2 shown]
	global_load_dwordx2 v[6:7], v[13:14], off offset:3000
	global_load_dwordx2 v[25:26], v[49:50], off offset:2104
	;; [unrolled: 1-line block ×5, first 2 shown]
.LBB0_14:
	s_or_b64 exec, exec, s[6:7]
	v_mov_b32_e32 v5, v59
.LBB0_15:
	s_or_b64 exec, exec, s[4:5]
	s_waitcnt vmcnt(13)
	v_sub_f32_e32 v8, v33, v35
	s_waitcnt vmcnt(5)
	v_sub_f32_e32 v13, v39, v37
	v_add_f32_e32 v8, v8, v13
	v_add_f32_e32 v13, v35, v37
	s_waitcnt vmcnt(2)
	v_fma_f32 v14, -0.5, v13, v11
	v_add_f32_e32 v0, v11, v33
	v_sub_f32_e32 v49, v34, v40
	v_mov_b32_e32 v50, v14
	v_add_f32_e32 v0, v0, v35
	v_fmac_f32_e32 v50, 0x3f737871, v49
	v_sub_f32_e32 v51, v36, v38
	v_add_f32_e32 v0, v0, v37
	v_fmac_f32_e32 v50, 0x3f167918, v51
	v_mad_u32_u24 v13, v59, 20, 0
	v_add_f32_e32 v0, v0, v39
	v_fmac_f32_e32 v50, 0x3e9e377a, v8
	v_add_u32_e32 v52, 0x9c4, v13
	ds_write2_b32 v52, v0, v50 offset1:1
	v_add_f32_e32 v52, v21, v19
	v_sub_f32_e32 v0, v17, v21
	v_sub_f32_e32 v50, v23, v19
	s_waitcnt vmcnt(0)
	v_fma_f32 v52, -0.5, v52, v15
	v_add_f32_e32 v0, v0, v50
	v_add_f32_e32 v50, v15, v17
	v_sub_f32_e32 v53, v18, v24
	v_mov_b32_e32 v54, v52
	v_add_f32_e32 v50, v50, v21
	v_fmac_f32_e32 v54, 0x3f737871, v53
	v_sub_f32_e32 v55, v22, v20
	v_add_f32_e32 v50, v50, v19
	v_fmac_f32_e32 v54, 0x3f167918, v55
	v_add_f32_e32 v50, v50, v23
	v_fmac_f32_e32 v54, 0x3e9e377a, v0
	v_add_u32_e32 v56, 0x1388, v13
	ds_write2_b32 v56, v50, v54 offset1:1
	v_add_f32_e32 v56, v41, v43
	v_sub_f32_e32 v50, v47, v41
	v_sub_f32_e32 v54, v45, v43
	v_fma_f32 v56, -0.5, v56, v9
	v_add_f32_e32 v50, v50, v54
	v_add_f32_e32 v54, v9, v47
	v_sub_f32_e32 v57, v48, v46
	v_mov_b32_e32 v58, v56
	v_add_f32_e32 v54, v54, v41
	v_fmac_f32_e32 v58, 0x3f737871, v57
	v_sub_f32_e32 v60, v42, v44
	v_add_f32_e32 v54, v54, v43
	v_fmac_f32_e32 v58, 0x3f167918, v60
	v_add_f32_e32 v54, v54, v45
	v_fmac_f32_e32 v58, 0x3e9e377a, v50
	ds_write2_b32 v13, v54, v58 offset1:1
	v_add_f32_e32 v54, v33, v39
	v_fmac_f32_e32 v11, -0.5, v54
	v_sub_f32_e32 v54, v35, v33
	v_sub_f32_e32 v58, v37, v39
	v_add_f32_e32 v54, v54, v58
	v_mov_b32_e32 v58, v11
	v_fmac_f32_e32 v58, 0xbf737871, v51
	v_fmac_f32_e32 v11, 0x3f737871, v51
	;; [unrolled: 1-line block ×6, first 2 shown]
	v_add_u32_e32 v54, 0x9cc, v13
	ds_write2_b32 v54, v58, v11 offset1:1
	v_add_f32_e32 v11, v17, v23
	v_fmac_f32_e32 v15, -0.5, v11
	v_sub_f32_e32 v11, v21, v17
	v_sub_f32_e32 v54, v19, v23
	v_add_f32_e32 v11, v11, v54
	v_mov_b32_e32 v54, v15
	v_fmac_f32_e32 v54, 0xbf737871, v55
	v_fmac_f32_e32 v15, 0x3f737871, v55
	;; [unrolled: 1-line block ×6, first 2 shown]
	v_add_u32_e32 v11, 0x1390, v13
	v_fmac_f32_e32 v14, 0xbf737871, v49
	v_fmac_f32_e32 v52, 0xbf737871, v53
	ds_write2_b32 v11, v54, v15 offset1:1
	v_add_f32_e32 v11, v47, v45
	v_fmac_f32_e32 v14, 0xbf167918, v51
	v_fmac_f32_e32 v52, 0xbf167918, v55
	v_fmac_f32_e32 v9, -0.5, v11
	v_sub_f32_e32 v11, v41, v47
	v_sub_f32_e32 v15, v43, v45
	v_fmac_f32_e32 v14, 0x3e9e377a, v8
	v_fmac_f32_e32 v52, 0x3e9e377a, v0
	v_sub_f32_e32 v0, v25, v27
	v_sub_f32_e32 v8, v31, v29
	v_add_f32_e32 v11, v11, v15
	v_mov_b32_e32 v15, v9
	v_add_f32_e32 v0, v8, v0
	v_add_f32_e32 v8, v29, v27
	v_fmac_f32_e32 v15, 0xbf737871, v60
	v_fmac_f32_e32 v9, 0x3f737871, v60
	v_fma_f32 v61, -0.5, v8, v6
	v_fmac_f32_e32 v15, 0x3f167918, v57
	v_fmac_f32_e32 v9, 0xbf167918, v57
	v_sub_f32_e32 v8, v26, v32
	v_mov_b32_e32 v62, v61
	v_fmac_f32_e32 v15, 0x3e9e377a, v11
	v_fmac_f32_e32 v9, 0x3e9e377a, v11
	v_fmac_f32_e32 v62, 0x3f737871, v8
	v_sub_f32_e32 v11, v28, v30
	v_fmac_f32_e32 v61, 0xbf737871, v8
	v_fmac_f32_e32 v62, 0x3f167918, v11
	;; [unrolled: 1-line block ×3, first 2 shown]
	v_add_f32_e32 v49, v31, v25
	v_fmac_f32_e32 v56, 0xbf737871, v57
	v_fmac_f32_e32 v62, 0x3e9e377a, v0
	;; [unrolled: 1-line block ×3, first 2 shown]
	v_add_f32_e32 v0, v25, v6
	v_fmac_f32_e32 v6, -0.5, v49
	v_fmac_f32_e32 v56, 0xbf167918, v60
	v_mov_b32_e32 v63, v6
	v_fmac_f32_e32 v56, 0x3e9e377a, v50
	v_sub_f32_e32 v49, v27, v25
	v_sub_f32_e32 v50, v29, v31
	v_fmac_f32_e32 v63, 0xbf737871, v11
	v_fmac_f32_e32 v6, 0x3f737871, v11
	v_add_f32_e32 v0, v27, v0
	v_add_f32_e32 v49, v50, v49
	v_fmac_f32_e32 v63, 0x3f167918, v8
	v_fmac_f32_e32 v6, 0xbf167918, v8
	v_add_f32_e32 v0, v29, v0
	v_fmac_f32_e32 v63, 0x3e9e377a, v49
	v_fmac_f32_e32 v6, 0x3e9e377a, v49
	v_add_f32_e32 v60, v31, v0
	v_cmp_gt_u32_e32 vcc, 25, v59
	ds_write2_b32 v13, v15, v9 offset0:2 offset1:3
	ds_write_b32 v13, v56 offset:16
	ds_write_b32 v13, v14 offset:2516
	;; [unrolled: 1-line block ×3, first 2 shown]
	s_and_saveexec_b64 s[4:5], vcc
	s_cbranch_execz .LBB0_17
; %bb.16:
	v_add_u32_e32 v0, 0x1d4c, v13
	ds_write2_b32 v0, v60, v62 offset1:1
	v_add_u32_e32 v0, 0x1d54, v13
	ds_write2_b32 v0, v63, v6 offset1:1
	ds_write_b32 v13, v61 offset:7516
.LBB0_17:
	s_or_b64 exec, exec, s[4:5]
	v_lshlrev_b32_e32 v0, 4, v59
	v_sub_u32_e32 v0, v13, v0
	v_add_u32_e32 v11, 0xc00, v0
	s_waitcnt lgkmcnt(0)
	s_barrier
	ds_read2_b32 v[57:58], v11 offset0:32 offset1:157
	v_add_u32_e32 v11, 0x1000, v0
	ds_read2_b32 v[49:50], v11 offset0:26 offset1:176
	v_add_u32_e32 v11, 0x1800, v0
	;; [unrolled: 2-line block ×3, first 2 shown]
	v_add_u32_e32 v8, 0x300, v0
	ds_read2_b32 v[53:54], v11 offset0:13 offset1:138
	v_add_u32_e32 v11, 0x1400, v0
	ds_read2_b32 v[14:15], v0 offset1:125
	ds_read2_b32 v[8:9], v8 offset0:58 offset1:208
	ds_read2_b32 v[51:52], v11 offset0:45 offset1:170
	ds_read_b32 v65, v0 offset:7400
	s_and_saveexec_b64 s[4:5], vcc
	s_cbranch_execz .LBB0_19
; %bb.18:
	ds_read_b32 v60, v0 offset:1500
	ds_read_b32 v62, v0 offset:3100
	;; [unrolled: 1-line block ×5, first 2 shown]
.LBB0_19:
	s_or_b64 exec, exec, s[4:5]
	v_add_f32_e32 v64, v42, v44
	v_fma_f32 v64, -0.5, v64, v10
	v_sub_f32_e32 v45, v47, v45
	v_mov_b32_e32 v47, v64
	v_fmac_f32_e32 v47, 0xbf737871, v45
	v_sub_f32_e32 v41, v41, v43
	v_sub_f32_e32 v43, v48, v42
	;; [unrolled: 1-line block ×3, first 2 shown]
	v_fmac_f32_e32 v64, 0x3f737871, v45
	v_fmac_f32_e32 v47, 0xbf167918, v41
	v_add_f32_e32 v43, v43, v66
	v_fmac_f32_e32 v64, 0x3f167918, v41
	v_fmac_f32_e32 v47, 0x3e9e377a, v43
	;; [unrolled: 1-line block ×3, first 2 shown]
	v_add_f32_e32 v43, v48, v46
	v_add_f32_e32 v11, v10, v48
	v_fmac_f32_e32 v10, -0.5, v43
	v_mov_b32_e32 v43, v10
	v_fmac_f32_e32 v43, 0x3f737871, v41
	v_fmac_f32_e32 v10, 0xbf737871, v41
	v_add_f32_e32 v41, v12, v34
	v_add_f32_e32 v11, v11, v42
	;; [unrolled: 1-line block ×4, first 2 shown]
	v_sub_f32_e32 v42, v42, v48
	v_sub_f32_e32 v44, v44, v46
	v_add_f32_e32 v41, v41, v38
	v_add_f32_e32 v42, v42, v44
	;; [unrolled: 1-line block ×4, first 2 shown]
	v_fmac_f32_e32 v43, 0xbf167918, v45
	v_fmac_f32_e32 v10, 0x3f167918, v45
	v_fma_f32 v45, -0.5, v41, v12
	v_sub_f32_e32 v33, v33, v39
	v_mov_b32_e32 v39, v45
	v_fmac_f32_e32 v39, 0xbf737871, v33
	v_sub_f32_e32 v35, v35, v37
	v_sub_f32_e32 v37, v34, v36
	;; [unrolled: 1-line block ×3, first 2 shown]
	v_fmac_f32_e32 v45, 0x3f737871, v33
	v_fmac_f32_e32 v39, 0xbf167918, v35
	v_add_f32_e32 v37, v37, v41
	v_fmac_f32_e32 v45, 0x3f167918, v35
	v_fmac_f32_e32 v39, 0x3e9e377a, v37
	;; [unrolled: 1-line block ×3, first 2 shown]
	v_add_f32_e32 v37, v34, v40
	v_fmac_f32_e32 v12, -0.5, v37
	v_mov_b32_e32 v37, v12
	v_fmac_f32_e32 v37, 0x3f737871, v35
	v_sub_f32_e32 v34, v36, v34
	v_sub_f32_e32 v36, v38, v40
	v_fmac_f32_e32 v12, 0xbf737871, v35
	v_fmac_f32_e32 v37, 0xbf167918, v33
	v_add_f32_e32 v34, v34, v36
	v_fmac_f32_e32 v12, 0x3f167918, v33
	v_fmac_f32_e32 v37, 0x3e9e377a, v34
	;; [unrolled: 1-line block ×3, first 2 shown]
	v_add_f32_e32 v34, v22, v20
	v_fma_f32 v35, -0.5, v34, v16
	v_sub_f32_e32 v17, v17, v23
	v_mov_b32_e32 v23, v35
	v_fmac_f32_e32 v23, 0xbf737871, v17
	v_sub_f32_e32 v19, v21, v19
	v_sub_f32_e32 v21, v18, v22
	;; [unrolled: 1-line block ×3, first 2 shown]
	v_fmac_f32_e32 v35, 0x3f737871, v17
	v_fmac_f32_e32 v23, 0xbf167918, v19
	v_add_f32_e32 v21, v21, v34
	v_fmac_f32_e32 v35, 0x3f167918, v19
	v_fmac_f32_e32 v23, 0x3e9e377a, v21
	;; [unrolled: 1-line block ×3, first 2 shown]
	v_add_f32_e32 v21, v18, v24
	v_add_f32_e32 v33, v16, v18
	v_fmac_f32_e32 v16, -0.5, v21
	v_mov_b32_e32 v21, v16
	v_fmac_f32_e32 v21, 0x3f737871, v19
	v_fmac_f32_e32 v16, 0xbf737871, v19
	;; [unrolled: 1-line block ×4, first 2 shown]
	v_add_f32_e32 v17, v26, v7
	v_add_f32_e32 v17, v28, v17
	;; [unrolled: 1-line block ×7, first 2 shown]
	v_sub_f32_e32 v18, v22, v18
	v_sub_f32_e32 v20, v20, v24
	v_fma_f32 v38, -0.5, v17, v7
	v_add_f32_e32 v18, v18, v20
	v_sub_f32_e32 v17, v25, v31
	v_mov_b32_e32 v41, v38
	v_fmac_f32_e32 v21, 0x3e9e377a, v18
	v_fmac_f32_e32 v16, 0x3e9e377a, v18
	;; [unrolled: 1-line block ×3, first 2 shown]
	v_sub_f32_e32 v18, v27, v29
	v_sub_f32_e32 v19, v26, v28
	v_sub_f32_e32 v20, v32, v30
	v_fmac_f32_e32 v38, 0x3f737871, v17
	v_fmac_f32_e32 v41, 0xbf167918, v18
	v_add_f32_e32 v19, v20, v19
	v_fmac_f32_e32 v38, 0x3f167918, v18
	v_fmac_f32_e32 v41, 0x3e9e377a, v19
	;; [unrolled: 1-line block ×3, first 2 shown]
	v_add_f32_e32 v19, v32, v26
	v_add_f32_e32 v11, v11, v46
	v_fmac_f32_e32 v10, 0x3e9e377a, v42
	v_fmac_f32_e32 v7, -0.5, v19
	v_fmac_f32_e32 v43, 0x3e9e377a, v42
	v_mov_b32_e32 v42, v7
	s_waitcnt lgkmcnt(0)
	s_barrier
	ds_write2_b32 v13, v11, v47 offset1:1
	ds_write2_b32 v13, v43, v10 offset0:2 offset1:3
	ds_write_b32 v13, v64 offset:16
	v_add_u32_e32 v10, 0x9c4, v13
	v_fmac_f32_e32 v42, 0x3f737871, v18
	v_sub_f32_e32 v19, v28, v26
	v_sub_f32_e32 v20, v30, v32
	v_fmac_f32_e32 v7, 0xbf737871, v18
	ds_write2_b32 v10, v44, v39 offset1:1
	v_add_u32_e32 v10, 0x9cc, v13
	v_add_f32_e32 v33, v33, v24
	v_fmac_f32_e32 v42, 0xbf167918, v17
	v_add_f32_e32 v19, v20, v19
	v_fmac_f32_e32 v7, 0x3f167918, v17
	ds_write2_b32 v10, v37, v12 offset1:1
	ds_write_b32 v13, v45 offset:2516
	v_add_u32_e32 v10, 0x1388, v13
	v_fmac_f32_e32 v42, 0x3e9e377a, v19
	v_fmac_f32_e32 v7, 0x3e9e377a, v19
	ds_write2_b32 v10, v33, v23 offset1:1
	v_add_u32_e32 v10, 0x1390, v13
	ds_write2_b32 v10, v21, v16 offset1:1
	ds_write_b32 v13, v35 offset:5016
	s_and_saveexec_b64 s[4:5], vcc
	s_cbranch_execz .LBB0_21
; %bb.20:
	v_add_u32_e32 v10, 0x1d4c, v13
	ds_write2_b32 v10, v34, v41 offset1:1
	v_add_u32_e32 v10, 0x1d54, v13
	ds_write2_b32 v10, v42, v7 offset1:1
	ds_write_b32 v13, v38 offset:7516
.LBB0_21:
	s_or_b64 exec, exec, s[4:5]
	v_add_u32_e32 v18, 0x1800, v0
	s_waitcnt lgkmcnt(0)
	s_barrier
	v_add_u32_e32 v16, 0xc00, v0
	ds_read2_b32 v[22:23], v18 offset0:64 offset1:189
	v_add_u32_e32 v18, 0x800, v0
	v_add_u32_e32 v10, 0x300, v0
	ds_read2_b32 v[24:25], v16 offset0:32 offset1:157
	v_add_u32_e32 v16, 0x1000, v0
	ds_read2_b32 v[20:21], v18 offset0:13 offset1:138
	v_add_u32_e32 v18, 0x1400, v0
	ds_read2_b32 v[12:13], v0 offset1:125
	ds_read2_b32 v[10:11], v10 offset0:58 offset1:208
	ds_read2_b32 v[16:17], v16 offset0:26 offset1:176
	;; [unrolled: 1-line block ×3, first 2 shown]
	ds_read_b32 v43, v0 offset:7400
	s_and_saveexec_b64 s[4:5], vcc
	s_cbranch_execz .LBB0_23
; %bb.22:
	ds_read_b32 v34, v0 offset:1500
	ds_read_b32 v41, v0 offset:3100
	ds_read_b32 v42, v0 offset:4700
	ds_read_b32 v7, v0 offset:6300
	ds_read_b32 v38, v0 offset:7900
.LBB0_23:
	s_or_b64 exec, exec, s[4:5]
	s_movk_i32 s4, 0xcd
	v_mul_lo_u16_sdwa v26, v59, s4 dst_sel:DWORD dst_unused:UNUSED_PAD src0_sel:BYTE_0 src1_sel:DWORD
	v_lshrrev_b16_e32 v35, 10, v26
	v_mul_lo_u16_e32 v26, 5, v35
	v_sub_u16_e32 v26, v59, v26
	v_mov_b32_e32 v39, 2
	v_mov_b32_e32 v48, 5
	v_lshlrev_b32_sdwa v64, v39, v26 dst_sel:DWORD dst_unused:UNUSED_PAD src0_sel:DWORD src1_sel:BYTE_0
	v_lshlrev_b32_sdwa v26, v48, v26 dst_sel:DWORD dst_unused:UNUSED_PAD src0_sel:DWORD src1_sel:BYTE_0
	global_load_dwordx4 v[44:47], v26, s[12:13] offset:16
	global_load_dwordx4 v[29:32], v26, s[12:13]
	v_add_u16_e32 v40, 0x7d, v59
	v_add_u32_e32 v37, 0xfa, v59
	v_add_u32_e32 v36, 0x177, v59
	v_mul_u32_u24_e32 v35, 0x64, v35
	v_add3_u32 v64, 0, v35, v64
	s_waitcnt vmcnt(1)
	v_mul_f32_e32 v27, v55, v47
	s_waitcnt vmcnt(0) lgkmcnt(3)
	v_mul_f32_e32 v26, v11, v30
	v_fma_f32 v28, v9, v29, -v26
	v_mul_f32_e32 v26, v9, v30
	v_mul_f32_e32 v9, v24, v32
	v_fmac_f32_e32 v26, v11, v29
	v_fma_f32 v29, v57, v31, -v9
	s_waitcnt lgkmcnt(2)
	v_mul_f32_e32 v9, v17, v45
	v_fma_f32 v30, v50, v44, -v9
	v_mul_f32_e32 v9, v22, v47
	v_mul_f32_e32 v11, v57, v32
	v_fma_f32 v33, v55, v46, -v9
	v_mul_lo_u16_sdwa v9, v40, s4 dst_sel:DWORD dst_unused:UNUSED_PAD src0_sel:BYTE_0 src1_sel:DWORD
	v_fmac_f32_e32 v11, v24, v31
	v_mul_f32_e32 v24, v50, v45
	v_lshrrev_b16_e32 v9, 10, v9
	v_fmac_f32_e32 v24, v17, v44
	v_mul_lo_u16_e32 v17, 5, v9
	v_sub_u16_e32 v17, v40, v17
	v_lshlrev_b32_sdwa v70, v39, v17 dst_sel:DWORD dst_unused:UNUSED_PAD src0_sel:DWORD src1_sel:BYTE_0
	v_lshlrev_b32_sdwa v17, v48, v17 dst_sel:DWORD dst_unused:UNUSED_PAD src0_sel:DWORD src1_sel:BYTE_0
	v_fmac_f32_e32 v27, v22, v46
	global_load_dwordx4 v[66:69], v17, s[12:13] offset:16
	global_load_dwordx4 v[45:48], v17, s[12:13]
	s_mov_b32 s4, 0xcccd
	s_waitcnt vmcnt(1)
	v_mul_f32_e32 v39, v56, v69
	s_waitcnt vmcnt(0)
	v_mul_f32_e32 v17, v20, v46
	v_fma_f32 v44, v53, v45, -v17
	v_mul_f32_e32 v31, v53, v46
	v_mul_f32_e32 v17, v25, v48
	v_fmac_f32_e32 v31, v20, v45
	v_fma_f32 v45, v58, v47, -v17
	v_mul_f32_e32 v32, v58, v48
	s_waitcnt lgkmcnt(1)
	v_mul_f32_e32 v17, v18, v67
	v_fmac_f32_e32 v32, v25, v47
	v_fma_f32 v47, v51, v66, -v17
	v_mul_f32_e32 v17, v23, v69
	v_fma_f32 v50, v56, v68, -v17
	v_mul_u32_u24_sdwa v17, v37, s4 dst_sel:DWORD dst_unused:UNUSED_PAD src0_sel:WORD_0 src1_sel:DWORD
	v_lshrrev_b32_e32 v71, 18, v17
	v_mul_lo_u16_e32 v17, 5, v71
	v_sub_u16_e32 v17, v37, v17
	v_mul_f32_e32 v25, v51, v67
	v_lshlrev_b32_e32 v72, 2, v17
	v_lshlrev_b32_e32 v17, 5, v17
	v_fmac_f32_e32 v25, v18, v66
	v_fmac_f32_e32 v39, v23, v68
	global_load_dwordx4 v[66:69], v17, s[12:13] offset:16
	global_load_dwordx4 v[55:58], v17, s[12:13]
	s_waitcnt vmcnt(1)
	v_mul_f32_e32 v51, v65, v69
	s_waitcnt vmcnt(0)
	v_mul_f32_e32 v17, v21, v56
	v_mul_f32_e32 v48, v49, v58
	v_fma_f32 v53, v54, v55, -v17
	v_mul_f32_e32 v46, v54, v56
	v_mul_f32_e32 v17, v16, v58
	v_fmac_f32_e32 v48, v16, v57
	v_mul_f32_e32 v16, v19, v67
	v_fmac_f32_e32 v46, v21, v55
	v_fma_f32 v55, v52, v66, -v16
	s_waitcnt lgkmcnt(0)
	v_mul_f32_e32 v16, v43, v69
	v_fma_f32 v54, v49, v57, -v17
	v_mul_f32_e32 v49, v52, v67
	v_fma_f32 v52, v65, v68, -v16
	v_mul_u32_u24_sdwa v16, v36, s4 dst_sel:DWORD dst_unused:UNUSED_PAD src0_sel:WORD_0 src1_sel:DWORD
	v_lshrrev_b32_e32 v56, 18, v16
	v_mul_lo_u16_e32 v16, 5, v56
	v_sub_u16_e32 v69, v36, v16
	v_fmac_f32_e32 v51, v43, v68
	v_lshlrev_b32_e32 v43, 5, v69
	v_fmac_f32_e32 v49, v19, v66
	global_load_dwordx4 v[16:19], v43, s[12:13] offset:16
	global_load_dwordx4 v[20:23], v43, s[12:13]
	s_waitcnt vmcnt(0)
	s_barrier
	v_lshlrev_b32_e32 v69, 2, v69
	v_mul_f32_e32 v43, v41, v21
	v_mul_f32_e32 v57, v62, v21
	v_fma_f32 v65, v62, v20, -v43
	v_fmac_f32_e32 v57, v41, v20
	v_mul_f32_e32 v20, v42, v23
	v_mul_f32_e32 v62, v6, v17
	v_fma_f32 v66, v63, v22, -v20
	v_mul_f32_e32 v20, v7, v17
	v_fmac_f32_e32 v62, v7, v16
	v_add_f32_e32 v7, v29, v30
	v_mul_f32_e32 v58, v63, v23
	v_fma_f32 v63, v6, v16, -v20
	v_mul_f32_e32 v6, v38, v19
	v_fma_f32 v7, -0.5, v7, v14
	v_fma_f32 v67, v61, v18, -v6
	v_mul_f32_e32 v61, v61, v19
	v_sub_f32_e32 v16, v26, v27
	v_mov_b32_e32 v17, v7
	v_fmac_f32_e32 v61, v38, v18
	v_fmac_f32_e32 v17, 0x3f737871, v16
	v_sub_f32_e32 v18, v11, v24
	v_sub_f32_e32 v19, v28, v29
	;; [unrolled: 1-line block ×3, first 2 shown]
	v_fmac_f32_e32 v7, 0xbf737871, v16
	v_fmac_f32_e32 v17, 0x3f167918, v18
	v_add_f32_e32 v19, v19, v20
	v_fmac_f32_e32 v7, 0xbf167918, v18
	v_fmac_f32_e32 v17, 0x3e9e377a, v19
	;; [unrolled: 1-line block ×3, first 2 shown]
	v_add_f32_e32 v19, v28, v33
	v_add_f32_e32 v6, v14, v28
	v_fma_f32 v14, -0.5, v19, v14
	v_mov_b32_e32 v19, v14
	v_fmac_f32_e32 v19, 0xbf737871, v18
	v_sub_f32_e32 v20, v29, v28
	v_sub_f32_e32 v21, v30, v33
	v_fmac_f32_e32 v14, 0x3f737871, v18
	v_add_f32_e32 v18, v45, v47
	v_fmac_f32_e32 v19, 0x3f167918, v16
	v_add_f32_e32 v20, v20, v21
	v_fmac_f32_e32 v14, 0xbf167918, v16
	v_fma_f32 v18, -0.5, v18, v15
	v_fmac_f32_e32 v19, 0x3e9e377a, v20
	v_fmac_f32_e32 v14, 0x3e9e377a, v20
	v_sub_f32_e32 v20, v31, v39
	v_mov_b32_e32 v21, v18
	v_fmac_f32_e32 v58, v42, v22
	v_fmac_f32_e32 v21, 0x3f737871, v20
	v_sub_f32_e32 v22, v32, v25
	v_sub_f32_e32 v23, v44, v45
	;; [unrolled: 1-line block ×3, first 2 shown]
	v_fmac_f32_e32 v18, 0xbf737871, v20
	v_fmac_f32_e32 v21, 0x3f167918, v22
	v_add_f32_e32 v23, v23, v38
	v_fmac_f32_e32 v18, 0xbf167918, v22
	v_fmac_f32_e32 v21, 0x3e9e377a, v23
	;; [unrolled: 1-line block ×3, first 2 shown]
	v_add_f32_e32 v23, v44, v50
	v_add_f32_e32 v16, v15, v44
	v_fmac_f32_e32 v15, -0.5, v23
	v_mov_b32_e32 v23, v15
	v_fmac_f32_e32 v23, 0xbf737871, v22
	v_sub_f32_e32 v38, v45, v44
	v_sub_f32_e32 v41, v47, v50
	v_fmac_f32_e32 v15, 0x3f737871, v22
	v_add_f32_e32 v22, v54, v55
	v_fmac_f32_e32 v23, 0x3f167918, v20
	v_add_f32_e32 v38, v38, v41
	v_fmac_f32_e32 v15, 0xbf167918, v20
	v_fma_f32 v22, -0.5, v22, v8
	v_fmac_f32_e32 v23, 0x3e9e377a, v38
	v_fmac_f32_e32 v15, 0x3e9e377a, v38
	v_sub_f32_e32 v38, v46, v51
	v_mov_b32_e32 v68, v22
	v_fmac_f32_e32 v68, 0x3f737871, v38
	v_sub_f32_e32 v41, v48, v49
	v_sub_f32_e32 v42, v53, v54
	;; [unrolled: 1-line block ×3, first 2 shown]
	v_fmac_f32_e32 v22, 0xbf737871, v38
	v_fmac_f32_e32 v68, 0x3f167918, v41
	v_add_f32_e32 v42, v42, v43
	v_fmac_f32_e32 v22, 0xbf167918, v41
	v_fmac_f32_e32 v68, 0x3e9e377a, v42
	v_fmac_f32_e32 v22, 0x3e9e377a, v42
	v_add_f32_e32 v42, v53, v52
	v_add_f32_e32 v20, v8, v53
	v_fmac_f32_e32 v8, -0.5, v42
	v_mov_b32_e32 v73, v8
	v_fmac_f32_e32 v73, 0xbf737871, v41
	v_sub_f32_e32 v42, v54, v53
	v_sub_f32_e32 v43, v55, v52
	v_fmac_f32_e32 v8, 0x3f737871, v41
	v_add_f32_e32 v41, v66, v63
	v_fmac_f32_e32 v73, 0x3f167918, v38
	v_add_f32_e32 v42, v42, v43
	v_fmac_f32_e32 v8, 0xbf167918, v38
	v_fma_f32 v41, -0.5, v41, v60
	v_fmac_f32_e32 v73, 0x3e9e377a, v42
	v_fmac_f32_e32 v8, 0x3e9e377a, v42
	v_sub_f32_e32 v74, v57, v61
	v_mov_b32_e32 v42, v41
	v_fmac_f32_e32 v42, 0x3f737871, v74
	v_sub_f32_e32 v75, v58, v62
	v_sub_f32_e32 v43, v65, v66
	;; [unrolled: 1-line block ×3, first 2 shown]
	v_fmac_f32_e32 v41, 0xbf737871, v74
	v_add_f32_e32 v6, v6, v29
	v_fmac_f32_e32 v42, 0x3f167918, v75
	v_add_f32_e32 v43, v43, v76
	;; [unrolled: 2-line block ×3, first 2 shown]
	v_fmac_f32_e32 v42, 0x3e9e377a, v43
	v_fmac_f32_e32 v41, 0x3e9e377a, v43
	v_add_f32_e32 v43, v65, v67
	v_add_f32_e32 v6, v6, v33
	;; [unrolled: 1-line block ×3, first 2 shown]
	v_fmac_f32_e32 v60, -0.5, v43
	v_add_f32_e32 v16, v16, v45
	v_add_f32_e32 v20, v20, v54
	v_mov_b32_e32 v43, v60
	ds_write2_b32 v64, v6, v17 offset1:5
	ds_write2_b32 v64, v19, v14 offset0:10 offset1:15
	ds_write_b32 v64, v7 offset:80
	v_mul_u32_u24_e32 v6, 0x64, v9
	v_add_f32_e32 v16, v16, v47
	v_add_f32_e32 v20, v20, v55
	;; [unrolled: 1-line block ×3, first 2 shown]
	v_fmac_f32_e32 v43, 0xbf737871, v75
	v_sub_f32_e32 v76, v66, v65
	v_sub_f32_e32 v77, v63, v67
	v_fmac_f32_e32 v60, 0x3f737871, v75
	v_add3_u32 v70, 0, v6, v70
	v_mul_u32_u24_e32 v6, 0x64, v71
	v_add_f32_e32 v16, v16, v50
	v_add_f32_e32 v20, v20, v52
	;; [unrolled: 1-line block ×3, first 2 shown]
	v_fmac_f32_e32 v43, 0x3f167918, v74
	v_add_f32_e32 v76, v76, v77
	v_fmac_f32_e32 v60, 0xbf167918, v74
	v_add3_u32 v71, 0, v6, v72
	v_add_f32_e32 v38, v38, v67
	v_fmac_f32_e32 v43, 0x3e9e377a, v76
	v_fmac_f32_e32 v60, 0x3e9e377a, v76
	ds_write2_b32 v70, v16, v21 offset1:5
	ds_write2_b32 v70, v23, v15 offset0:10 offset1:15
	ds_write_b32 v70, v18 offset:80
	ds_write2_b32 v71, v20, v68 offset1:5
	ds_write2_b32 v71, v73, v8 offset0:10 offset1:15
	ds_write_b32 v71, v22 offset:80
	v_mul_lo_u16_e32 v68, 25, v56
	s_and_saveexec_b64 s[4:5], vcc
	s_cbranch_execz .LBB0_25
; %bb.24:
	v_lshlrev_b32_e32 v6, 2, v68
	v_add3_u32 v6, 0, v69, v6
	ds_write2_b32 v6, v38, v42 offset1:5
	ds_write2_b32 v6, v43, v60 offset0:10 offset1:15
	ds_write_b32 v6, v41 offset:80
.LBB0_25:
	s_or_b64 exec, exec, s[4:5]
	v_add_u32_e32 v16, 0x1800, v0
	s_waitcnt lgkmcnt(0)
	s_barrier
	v_add_u32_e32 v14, 0xc00, v0
	ds_read2_b32 v[20:21], v16 offset0:64 offset1:189
	v_add_u32_e32 v16, 0x800, v0
	v_add_u32_e32 v6, 0x300, v0
	ds_read2_b32 v[22:23], v14 offset0:32 offset1:157
	v_add_u32_e32 v14, 0x1000, v0
	ds_read2_b32 v[18:19], v16 offset0:13 offset1:138
	v_add_u32_e32 v16, 0x1400, v0
	ds_read2_b32 v[8:9], v0 offset1:125
	ds_read2_b32 v[6:7], v6 offset0:58 offset1:208
	ds_read2_b32 v[14:15], v14 offset0:26 offset1:176
	;; [unrolled: 1-line block ×3, first 2 shown]
	ds_read_b32 v56, v0 offset:7400
	v_lshl_add_u32 v35, v59, 2, 0
	s_and_saveexec_b64 s[4:5], vcc
	s_cbranch_execz .LBB0_27
; %bb.26:
	ds_read_b32 v42, v0 offset:3100
	ds_read_b32 v43, v0 offset:4700
	;; [unrolled: 1-line block ×5, first 2 shown]
.LBB0_27:
	s_or_b64 exec, exec, s[4:5]
	v_add_f32_e32 v73, v11, v24
	v_fma_f32 v73, -0.5, v73, v12
	v_sub_f32_e32 v28, v28, v33
	v_mov_b32_e32 v33, v73
	v_add_f32_e32 v72, v12, v26
	v_fmac_f32_e32 v33, 0xbf737871, v28
	v_sub_f32_e32 v29, v29, v30
	v_sub_f32_e32 v30, v26, v11
	v_sub_f32_e32 v74, v27, v24
	v_fmac_f32_e32 v73, 0x3f737871, v28
	v_add_f32_e32 v72, v72, v11
	v_fmac_f32_e32 v33, 0xbf167918, v29
	v_add_f32_e32 v30, v30, v74
	;; [unrolled: 2-line block ×3, first 2 shown]
	v_fmac_f32_e32 v33, 0x3e9e377a, v30
	v_fmac_f32_e32 v73, 0x3e9e377a, v30
	v_add_f32_e32 v30, v26, v27
	v_sub_f32_e32 v11, v11, v26
	v_sub_f32_e32 v24, v24, v27
	v_fma_f32 v12, -0.5, v30, v12
	v_add_f32_e32 v11, v11, v24
	v_add_f32_e32 v24, v32, v25
	v_mov_b32_e32 v30, v12
	v_fma_f32 v24, -0.5, v24, v13
	v_add_f32_e32 v72, v72, v27
	v_fmac_f32_e32 v30, 0x3f737871, v29
	v_fmac_f32_e32 v12, 0xbf737871, v29
	v_sub_f32_e32 v26, v44, v50
	v_mov_b32_e32 v27, v24
	v_fmac_f32_e32 v30, 0xbf167918, v28
	v_fmac_f32_e32 v12, 0x3f167918, v28
	;; [unrolled: 1-line block ×3, first 2 shown]
	v_sub_f32_e32 v28, v45, v47
	v_sub_f32_e32 v29, v31, v32
	v_sub_f32_e32 v44, v39, v25
	v_fmac_f32_e32 v24, 0x3f737871, v26
	v_fmac_f32_e32 v27, 0xbf167918, v28
	v_add_f32_e32 v29, v29, v44
	v_fmac_f32_e32 v24, 0x3f167918, v28
	v_fmac_f32_e32 v27, 0x3e9e377a, v29
	;; [unrolled: 1-line block ×3, first 2 shown]
	v_add_f32_e32 v29, v31, v39
	v_fmac_f32_e32 v30, 0x3e9e377a, v11
	v_fmac_f32_e32 v12, 0x3e9e377a, v11
	v_add_f32_e32 v11, v13, v31
	v_fmac_f32_e32 v13, -0.5, v29
	v_mov_b32_e32 v29, v13
	v_fmac_f32_e32 v29, 0x3f737871, v28
	v_fmac_f32_e32 v13, 0xbf737871, v28
	v_add_f32_e32 v11, v11, v32
	v_fmac_f32_e32 v29, 0xbf167918, v26
	v_fmac_f32_e32 v13, 0x3f167918, v26
	v_add_f32_e32 v26, v48, v49
	v_add_f32_e32 v11, v11, v25
	v_sub_f32_e32 v31, v32, v31
	v_sub_f32_e32 v25, v25, v39
	v_fma_f32 v26, -0.5, v26, v10
	v_add_f32_e32 v25, v31, v25
	v_sub_f32_e32 v28, v53, v52
	v_mov_b32_e32 v31, v26
	v_add_f32_e32 v11, v11, v39
	v_fmac_f32_e32 v31, 0xbf737871, v28
	v_sub_f32_e32 v32, v54, v55
	v_sub_f32_e32 v39, v46, v48
	;; [unrolled: 1-line block ×3, first 2 shown]
	v_fmac_f32_e32 v26, 0x3f737871, v28
	v_fmac_f32_e32 v31, 0xbf167918, v32
	v_add_f32_e32 v39, v39, v44
	v_fmac_f32_e32 v26, 0x3f167918, v32
	v_fmac_f32_e32 v31, 0x3e9e377a, v39
	v_fmac_f32_e32 v26, 0x3e9e377a, v39
	v_add_f32_e32 v39, v46, v51
	v_fmac_f32_e32 v29, 0x3e9e377a, v25
	v_fmac_f32_e32 v13, 0x3e9e377a, v25
	v_add_f32_e32 v25, v10, v46
	v_fmac_f32_e32 v10, -0.5, v39
	v_mov_b32_e32 v44, v10
	v_fmac_f32_e32 v44, 0x3f737871, v32
	v_fmac_f32_e32 v10, 0xbf737871, v32
	;; [unrolled: 1-line block ×4, first 2 shown]
	v_add_f32_e32 v28, v34, v57
	v_sub_f32_e32 v39, v48, v46
	v_sub_f32_e32 v45, v49, v51
	v_add_f32_e32 v28, v28, v58
	v_add_f32_e32 v39, v39, v45
	;; [unrolled: 1-line block ×3, first 2 shown]
	v_fmac_f32_e32 v44, 0x3e9e377a, v39
	v_fmac_f32_e32 v10, 0x3e9e377a, v39
	v_add_f32_e32 v39, v28, v61
	v_add_f32_e32 v28, v58, v62
	v_fma_f32 v46, -0.5, v28, v34
	v_sub_f32_e32 v28, v65, v67
	v_mov_b32_e32 v47, v46
	v_add_f32_e32 v25, v25, v48
	v_fmac_f32_e32 v47, 0xbf737871, v28
	v_sub_f32_e32 v32, v66, v63
	v_sub_f32_e32 v45, v57, v58
	;; [unrolled: 1-line block ×3, first 2 shown]
	v_fmac_f32_e32 v46, 0x3f737871, v28
	v_fmac_f32_e32 v47, 0xbf167918, v32
	v_add_f32_e32 v45, v45, v48
	v_fmac_f32_e32 v46, 0x3f167918, v32
	v_fmac_f32_e32 v47, 0x3e9e377a, v45
	;; [unrolled: 1-line block ×3, first 2 shown]
	v_add_f32_e32 v45, v57, v61
	v_fmac_f32_e32 v34, -0.5, v45
	v_mov_b32_e32 v48, v34
	v_add_f32_e32 v25, v25, v49
	v_fmac_f32_e32 v48, 0x3f737871, v32
	v_sub_f32_e32 v45, v58, v57
	v_sub_f32_e32 v49, v62, v61
	v_fmac_f32_e32 v34, 0xbf737871, v32
	v_fmac_f32_e32 v48, 0xbf167918, v28
	v_add_f32_e32 v45, v45, v49
	v_fmac_f32_e32 v34, 0x3f167918, v28
	v_fmac_f32_e32 v48, 0x3e9e377a, v45
	v_fmac_f32_e32 v34, 0x3e9e377a, v45
	v_add_f32_e32 v25, v25, v51
	s_waitcnt lgkmcnt(0)
	s_barrier
	ds_write2_b32 v64, v72, v33 offset1:5
	ds_write2_b32 v64, v30, v12 offset0:10 offset1:15
	ds_write_b32 v64, v73 offset:80
	ds_write2_b32 v70, v11, v27 offset1:5
	ds_write2_b32 v70, v29, v13 offset0:10 offset1:15
	ds_write_b32 v70, v24 offset:80
	;; [unrolled: 3-line block ×3, first 2 shown]
	s_and_saveexec_b64 s[4:5], vcc
	s_cbranch_execz .LBB0_29
; %bb.28:
	v_lshlrev_b32_e32 v10, 2, v68
	v_add3_u32 v10, 0, v69, v10
	ds_write2_b32 v10, v39, v47 offset1:5
	ds_write2_b32 v10, v48, v34 offset0:10 offset1:15
	ds_write_b32 v10, v46 offset:80
.LBB0_29:
	s_or_b64 exec, exec, s[4:5]
	v_add_u32_e32 v26, 0x1800, v0
	s_waitcnt lgkmcnt(0)
	s_barrier
	v_add_u32_e32 v24, 0xc00, v0
	ds_read2_b32 v[30:31], v26 offset0:64 offset1:189
	v_add_u32_e32 v26, 0x800, v0
	v_add_u32_e32 v10, 0x300, v0
	ds_read2_b32 v[32:33], v24 offset0:32 offset1:157
	v_add_u32_e32 v24, 0x1000, v0
	ds_read2_b32 v[28:29], v26 offset0:13 offset1:138
	v_add_u32_e32 v26, 0x1400, v0
	ds_read2_b32 v[12:13], v0 offset1:125
	ds_read2_b32 v[10:11], v10 offset0:58 offset1:208
	ds_read2_b32 v[24:25], v24 offset0:26 offset1:176
	;; [unrolled: 1-line block ×3, first 2 shown]
	ds_read_b32 v49, v0 offset:7400
	s_and_saveexec_b64 s[4:5], vcc
	s_cbranch_execz .LBB0_31
; %bb.30:
	ds_read_b32 v47, v0 offset:3100
	ds_read_b32 v48, v0 offset:4700
	;; [unrolled: 1-line block ×5, first 2 shown]
.LBB0_31:
	s_or_b64 exec, exec, s[4:5]
	v_mov_b32_e32 v54, 41
	v_mul_lo_u16_sdwa v44, v59, v54 dst_sel:DWORD dst_unused:UNUSED_PAD src0_sel:BYTE_0 src1_sel:DWORD
	v_lshrrev_b16_e32 v58, 10, v44
	v_mul_lo_u16_e32 v44, 25, v58
	v_sub_u16_e32 v44, v59, v44
	v_mov_b32_e32 v55, 2
	v_mov_b32_e32 v57, 5
	v_lshlrev_b32_sdwa v65, v55, v44 dst_sel:DWORD dst_unused:UNUSED_PAD src0_sel:DWORD src1_sel:BYTE_0
	v_lshlrev_b32_sdwa v44, v57, v44 dst_sel:DWORD dst_unused:UNUSED_PAD src0_sel:DWORD src1_sel:BYTE_0
	global_load_dwordx4 v[50:53], v44, s[12:13] offset:176
	global_load_dwordx4 v[61:64], v44, s[12:13] offset:160
	s_movk_i32 s4, 0x47af
	s_waitcnt vmcnt(0) lgkmcnt(3)
	v_mul_f32_e32 v44, v11, v62
	v_fma_f32 v44, v7, v61, -v44
	v_mul_f32_e32 v7, v7, v62
	v_fmac_f32_e32 v7, v11, v61
	v_mul_f32_e32 v11, v32, v64
	v_fma_f32 v45, v22, v63, -v11
	v_mul_f32_e32 v11, v22, v64
	s_waitcnt lgkmcnt(2)
	v_mul_f32_e32 v22, v25, v51
	v_fma_f32 v22, v15, v50, -v22
	v_mul_f32_e32 v15, v15, v51
	v_fmac_f32_e32 v15, v25, v50
	v_mul_f32_e32 v25, v30, v53
	v_fma_f32 v25, v20, v52, -v25
	v_mul_f32_e32 v20, v20, v53
	v_fmac_f32_e32 v20, v30, v52
	v_mul_lo_u16_sdwa v30, v40, v54 dst_sel:DWORD dst_unused:UNUSED_PAD src0_sel:BYTE_0 src1_sel:DWORD
	v_lshrrev_b16_e32 v66, 10, v30
	v_mul_lo_u16_e32 v30, 25, v66
	v_sub_u16_e32 v30, v40, v30
	v_lshlrev_b32_sdwa v67, v55, v30 dst_sel:DWORD dst_unused:UNUSED_PAD src0_sel:DWORD src1_sel:BYTE_0
	v_lshlrev_b32_sdwa v30, v57, v30 dst_sel:DWORD dst_unused:UNUSED_PAD src0_sel:DWORD src1_sel:BYTE_0
	v_fmac_f32_e32 v11, v32, v63
	global_load_dwordx4 v[50:53], v30, s[12:13] offset:176
	global_load_dwordx4 v[61:64], v30, s[12:13] offset:160
	s_waitcnt vmcnt(1) lgkmcnt(1)
	v_mul_f32_e32 v32, v26, v51
	s_waitcnt vmcnt(0)
	v_mul_f32_e32 v30, v28, v62
	v_fma_f32 v32, v16, v50, -v32
	v_mul_f32_e32 v16, v16, v51
	v_fma_f32 v30, v18, v61, -v30
	v_mul_f32_e32 v18, v18, v62
	v_fmac_f32_e32 v16, v26, v50
	v_mul_f32_e32 v26, v31, v53
	v_fmac_f32_e32 v18, v28, v61
	v_mul_f32_e32 v28, v33, v64
	v_fma_f32 v26, v21, v52, -v26
	v_mul_f32_e32 v21, v21, v53
	v_fma_f32 v28, v23, v63, -v28
	v_mul_f32_e32 v23, v23, v64
	v_fmac_f32_e32 v21, v31, v52
	v_mul_u32_u24_sdwa v31, v37, s4 dst_sel:DWORD dst_unused:UNUSED_PAD src0_sel:WORD_0 src1_sel:DWORD
	v_fmac_f32_e32 v23, v33, v63
	v_sub_u16_sdwa v33, v37, v31 dst_sel:DWORD dst_unused:UNUSED_PAD src0_sel:DWORD src1_sel:WORD_1
	v_lshrrev_b16_e32 v33, 1, v33
	v_add_u16_sdwa v31, v33, v31 dst_sel:DWORD dst_unused:UNUSED_PAD src0_sel:DWORD src1_sel:WORD_1
	v_lshrrev_b16_e32 v68, 4, v31
	v_mul_lo_u16_e32 v31, 25, v68
	v_sub_u16_e32 v31, v37, v31
	v_lshlrev_b32_e32 v69, 2, v31
	v_lshlrev_b32_e32 v31, 5, v31
	global_load_dwordx4 v[50:53], v31, s[12:13] offset:176
	global_load_dwordx4 v[61:64], v31, s[12:13] offset:160
	v_mul_u32_u24_sdwa v37, v36, s4 dst_sel:DWORD dst_unused:UNUSED_PAD src0_sel:WORD_0 src1_sel:DWORD
	v_sub_u16_sdwa v40, v36, v37 dst_sel:DWORD dst_unused:UNUSED_PAD src0_sel:DWORD src1_sel:WORD_1
	v_lshrrev_b16_e32 v40, 1, v40
	v_add_u16_sdwa v37, v40, v37 dst_sel:DWORD dst_unused:UNUSED_PAD src0_sel:DWORD src1_sel:WORD_1
	v_lshrrev_b16_e32 v37, 4, v37
	v_mul_lo_u16_e32 v37, 25, v37
	s_waitcnt vmcnt(0)
	v_mul_f32_e32 v31, v29, v62
	v_fma_f32 v31, v19, v61, -v31
	v_mul_f32_e32 v19, v19, v62
	v_fmac_f32_e32 v19, v29, v61
	v_mul_f32_e32 v29, v24, v64
	v_fma_f32 v29, v14, v63, -v29
	v_mul_f32_e32 v14, v14, v64
	v_fmac_f32_e32 v14, v24, v63
	v_mul_f32_e32 v24, v27, v51
	v_fma_f32 v33, v17, v50, -v24
	v_mul_f32_e32 v17, v17, v51
	s_waitcnt lgkmcnt(0)
	v_mul_f32_e32 v24, v49, v53
	v_sub_u16_e32 v61, v36, v37
	v_fmac_f32_e32 v17, v27, v50
	v_fma_f32 v27, v56, v52, -v24
	v_mul_f32_e32 v24, v56, v53
	v_lshlrev_b32_e32 v36, 5, v61
	v_fmac_f32_e32 v24, v49, v52
	global_load_dwordx4 v[50:53], v36, s[12:13] offset:176
	global_load_dwordx4 v[54:57], v36, s[12:13] offset:160
	v_sub_f32_e32 v62, v14, v17
	v_sub_f32_e32 v63, v31, v29
	;; [unrolled: 1-line block ×3, first 2 shown]
	v_add_f32_e32 v63, v63, v64
	s_waitcnt vmcnt(0)
	s_barrier
	v_sub_f32_e32 v64, v29, v31
	v_sub_f32_e32 v70, v33, v27
	v_add_f32_e32 v64, v64, v70
	v_mul_f32_e32 v40, v34, v51
	v_mul_f32_e32 v36, v47, v55
	;; [unrolled: 1-line block ×3, first 2 shown]
	v_fma_f32 v49, v42, v54, -v36
	v_mul_f32_e32 v36, v42, v55
	v_fma_f32 v42, v43, v56, -v37
	v_mul_f32_e32 v37, v43, v57
	;; [unrolled: 2-line block ×3, first 2 shown]
	v_fmac_f32_e32 v40, v34, v50
	v_mul_f32_e32 v34, v46, v53
	v_fmac_f32_e32 v36, v47, v54
	v_fma_f32 v47, v41, v52, -v34
	v_mul_f32_e32 v34, v41, v53
	v_fmac_f32_e32 v34, v46, v52
	v_add_f32_e32 v46, v45, v22
	v_fmac_f32_e32 v37, v48, v56
	v_fma_f32 v48, -0.5, v46, v8
	v_sub_f32_e32 v46, v7, v20
	v_mov_b32_e32 v50, v48
	v_fmac_f32_e32 v50, 0x3f737871, v46
	v_sub_f32_e32 v51, v11, v15
	v_sub_f32_e32 v52, v44, v45
	;; [unrolled: 1-line block ×3, first 2 shown]
	v_fmac_f32_e32 v48, 0xbf737871, v46
	v_fmac_f32_e32 v50, 0x3f167918, v51
	v_add_f32_e32 v52, v52, v53
	v_fmac_f32_e32 v48, 0xbf167918, v51
	v_fmac_f32_e32 v50, 0x3e9e377a, v52
	;; [unrolled: 1-line block ×3, first 2 shown]
	v_add_f32_e32 v52, v44, v25
	v_add_f32_e32 v41, v8, v44
	v_fma_f32 v8, -0.5, v52, v8
	v_mov_b32_e32 v52, v8
	v_fmac_f32_e32 v52, 0xbf737871, v51
	v_fmac_f32_e32 v8, 0x3f737871, v51
	;; [unrolled: 1-line block ×4, first 2 shown]
	v_add_f32_e32 v46, v9, v30
	v_add_f32_e32 v46, v46, v28
	v_sub_f32_e32 v53, v45, v44
	v_sub_f32_e32 v54, v22, v25
	v_add_f32_e32 v46, v46, v32
	v_add_f32_e32 v53, v53, v54
	;; [unrolled: 1-line block ×4, first 2 shown]
	v_fmac_f32_e32 v52, 0x3e9e377a, v53
	v_fmac_f32_e32 v8, 0x3e9e377a, v53
	v_fma_f32 v53, -0.5, v46, v9
	v_sub_f32_e32 v46, v18, v21
	v_mov_b32_e32 v54, v53
	v_fmac_f32_e32 v54, 0x3f737871, v46
	v_sub_f32_e32 v55, v23, v16
	v_sub_f32_e32 v56, v30, v28
	;; [unrolled: 1-line block ×3, first 2 shown]
	v_fmac_f32_e32 v53, 0xbf737871, v46
	v_fmac_f32_e32 v54, 0x3f167918, v55
	v_add_f32_e32 v56, v56, v57
	v_fmac_f32_e32 v53, 0xbf167918, v55
	v_fmac_f32_e32 v54, 0x3e9e377a, v56
	;; [unrolled: 1-line block ×3, first 2 shown]
	v_add_f32_e32 v56, v30, v26
	v_fmac_f32_e32 v9, -0.5, v56
	v_mov_b32_e32 v56, v9
	v_fmac_f32_e32 v56, 0xbf737871, v55
	v_fmac_f32_e32 v9, 0x3f737871, v55
	;; [unrolled: 1-line block ×4, first 2 shown]
	v_add_f32_e32 v46, v6, v31
	v_add_f32_e32 v46, v46, v29
	v_sub_f32_e32 v57, v28, v30
	v_sub_f32_e32 v60, v32, v26
	v_add_f32_e32 v46, v46, v33
	v_add_f32_e32 v57, v57, v60
	;; [unrolled: 1-line block ×4, first 2 shown]
	v_fmac_f32_e32 v56, 0x3e9e377a, v57
	v_fmac_f32_e32 v9, 0x3e9e377a, v57
	v_fma_f32 v57, -0.5, v46, v6
	v_sub_f32_e32 v46, v19, v24
	v_mov_b32_e32 v60, v57
	v_fmac_f32_e32 v60, 0x3f737871, v46
	v_fmac_f32_e32 v57, 0xbf737871, v46
	;; [unrolled: 1-line block ×6, first 2 shown]
	v_add_f32_e32 v63, v31, v27
	v_fmac_f32_e32 v6, -0.5, v63
	v_mov_b32_e32 v63, v6
	v_add_f32_e32 v41, v41, v45
	v_fmac_f32_e32 v63, 0xbf737871, v62
	v_fmac_f32_e32 v6, 0x3f737871, v62
	v_add_f32_e32 v41, v41, v22
	v_fmac_f32_e32 v63, 0x3f167918, v46
	v_fmac_f32_e32 v6, 0xbf167918, v46
	v_mul_u32_u24_e32 v46, 0x1f4, v58
	v_add_f32_e32 v41, v41, v25
	v_add3_u32 v46, 0, v46, v65
	ds_write2_b32 v46, v41, v50 offset1:25
	ds_write2_b32 v46, v52, v8 offset0:50 offset1:75
	ds_write_b32 v46, v48 offset:400
	v_mul_u32_u24_e32 v8, 0x1f4, v66
	v_add3_u32 v48, 0, v8, v67
	v_mul_u32_u24_e32 v8, 0x1f4, v68
	v_add3_u32 v50, 0, v8, v69
	v_lshl_add_u32 v41, v61, 2, 0
	v_fmac_f32_e32 v63, 0x3e9e377a, v64
	v_fmac_f32_e32 v6, 0x3e9e377a, v64
	ds_write2_b32 v48, v51, v54 offset1:25
	ds_write2_b32 v48, v56, v9 offset0:50 offset1:75
	ds_write_b32 v48, v53 offset:400
	ds_write2_b32 v50, v55, v60 offset1:25
	ds_write2_b32 v50, v63, v6 offset0:50 offset1:75
	ds_write_b32 v50, v57 offset:400
	s_and_saveexec_b64 s[4:5], vcc
	s_cbranch_execz .LBB0_33
; %bb.32:
	v_sub_f32_e32 v6, v42, v49
	v_sub_f32_e32 v8, v43, v47
	v_add_f32_e32 v6, v6, v8
	v_add_f32_e32 v8, v49, v47
	v_fma_f32 v8, -0.5, v8, v38
	v_sub_f32_e32 v9, v37, v40
	v_mov_b32_e32 v51, v8
	v_fmac_f32_e32 v51, 0x3f737871, v9
	v_sub_f32_e32 v52, v36, v34
	v_fmac_f32_e32 v8, 0xbf737871, v9
	v_fmac_f32_e32 v51, 0xbf167918, v52
	;; [unrolled: 1-line block ×5, first 2 shown]
	v_sub_f32_e32 v6, v49, v42
	v_sub_f32_e32 v53, v47, v43
	v_add_f32_e32 v6, v6, v53
	v_add_f32_e32 v53, v42, v43
	v_fma_f32 v53, -0.5, v53, v38
	v_mov_b32_e32 v54, v53
	v_fmac_f32_e32 v54, 0xbf737871, v52
	v_fmac_f32_e32 v53, 0x3f737871, v52
	;; [unrolled: 1-line block ×6, first 2 shown]
	v_add_f32_e32 v6, v38, v49
	v_add_f32_e32 v6, v6, v42
	;; [unrolled: 1-line block ×4, first 2 shown]
	v_add_u32_e32 v9, 0x1c00, v41
	ds_write2_b32 v9, v6, v53 offset0:83 offset1:108
	ds_write2_b32 v9, v8, v51 offset0:133 offset1:158
	ds_write_b32 v41, v54 offset:7900
.LBB0_33:
	s_or_b64 exec, exec, s[4:5]
	v_add_f32_e32 v6, v12, v7
	v_add_f32_e32 v6, v6, v11
	;; [unrolled: 1-line block ×5, first 2 shown]
	v_fma_f32 v51, -0.5, v6, v12
	v_sub_f32_e32 v6, v44, v25
	v_mov_b32_e32 v25, v51
	v_fmac_f32_e32 v25, 0xbf737871, v6
	v_sub_f32_e32 v8, v45, v22
	v_sub_f32_e32 v9, v7, v11
	;; [unrolled: 1-line block ×3, first 2 shown]
	v_fmac_f32_e32 v51, 0x3f737871, v6
	v_fmac_f32_e32 v25, 0xbf167918, v8
	v_add_f32_e32 v9, v9, v22
	v_fmac_f32_e32 v51, 0x3f167918, v8
	v_fmac_f32_e32 v25, 0x3e9e377a, v9
	;; [unrolled: 1-line block ×3, first 2 shown]
	v_add_f32_e32 v9, v7, v20
	v_fma_f32 v44, -0.5, v9, v12
	v_mov_b32_e32 v45, v44
	v_fmac_f32_e32 v45, 0x3f737871, v8
	v_fmac_f32_e32 v44, 0xbf737871, v8
	;; [unrolled: 1-line block ×4, first 2 shown]
	v_add_f32_e32 v6, v13, v18
	v_add_f32_e32 v6, v6, v23
	;; [unrolled: 1-line block ×5, first 2 shown]
	v_sub_f32_e32 v7, v11, v7
	v_sub_f32_e32 v9, v15, v20
	v_fma_f32 v53, -0.5, v6, v13
	v_add_f32_e32 v7, v7, v9
	v_sub_f32_e32 v6, v30, v26
	v_mov_b32_e32 v26, v53
	v_fmac_f32_e32 v45, 0x3e9e377a, v7
	v_fmac_f32_e32 v44, 0x3e9e377a, v7
	;; [unrolled: 1-line block ×3, first 2 shown]
	v_sub_f32_e32 v7, v28, v32
	v_sub_f32_e32 v8, v18, v23
	;; [unrolled: 1-line block ×3, first 2 shown]
	v_fmac_f32_e32 v53, 0x3f737871, v6
	v_fmac_f32_e32 v26, 0xbf167918, v7
	v_add_f32_e32 v8, v8, v9
	v_fmac_f32_e32 v53, 0x3f167918, v7
	v_fmac_f32_e32 v26, 0x3e9e377a, v8
	;; [unrolled: 1-line block ×3, first 2 shown]
	v_add_f32_e32 v8, v18, v21
	v_fmac_f32_e32 v13, -0.5, v8
	v_mov_b32_e32 v28, v13
	v_fmac_f32_e32 v28, 0x3f737871, v7
	v_fmac_f32_e32 v13, 0xbf737871, v7
	;; [unrolled: 1-line block ×4, first 2 shown]
	v_add_f32_e32 v6, v10, v19
	v_add_f32_e32 v6, v6, v14
	;; [unrolled: 1-line block ×5, first 2 shown]
	v_sub_f32_e32 v8, v23, v18
	v_sub_f32_e32 v9, v16, v21
	v_fma_f32 v32, -0.5, v6, v10
	v_add_f32_e32 v8, v8, v9
	v_sub_f32_e32 v6, v31, v27
	v_mov_b32_e32 v27, v32
	v_fmac_f32_e32 v28, 0x3e9e377a, v8
	v_fmac_f32_e32 v13, 0x3e9e377a, v8
	;; [unrolled: 1-line block ×3, first 2 shown]
	v_sub_f32_e32 v7, v29, v33
	v_sub_f32_e32 v8, v19, v14
	;; [unrolled: 1-line block ×3, first 2 shown]
	v_fmac_f32_e32 v32, 0x3f737871, v6
	v_fmac_f32_e32 v27, 0xbf167918, v7
	v_add_f32_e32 v8, v8, v9
	v_fmac_f32_e32 v32, 0x3f167918, v7
	v_fmac_f32_e32 v27, 0x3e9e377a, v8
	;; [unrolled: 1-line block ×3, first 2 shown]
	v_add_f32_e32 v8, v19, v24
	v_fmac_f32_e32 v10, -0.5, v8
	v_mov_b32_e32 v29, v10
	v_add_u32_e32 v11, 0x800, v0
	v_fmac_f32_e32 v29, 0x3f737871, v7
	v_sub_f32_e32 v8, v14, v19
	v_sub_f32_e32 v9, v17, v24
	v_fmac_f32_e32 v10, 0xbf737871, v7
	s_waitcnt lgkmcnt(0)
	s_barrier
	ds_read2_b32 v[20:21], v11 offset0:113 offset1:238
	v_add_u32_e32 v11, 0xc00, v0
	v_fmac_f32_e32 v29, 0xbf167918, v6
	v_add_f32_e32 v8, v8, v9
	v_fmac_f32_e32 v10, 0x3f167918, v6
	ds_read2_b32 v[14:15], v11 offset0:107 offset1:232
	v_add_u32_e32 v11, 0x1000, v0
	v_fmac_f32_e32 v29, 0x3e9e377a, v8
	v_fmac_f32_e32 v10, 0x3e9e377a, v8
	v_add_u32_e32 v8, 0x3e0, v0
	ds_read2_b32 v[16:17], v11 offset0:101 offset1:226
	v_add_u32_e32 v11, 0x1400, v0
	v_add_u32_e32 v18, 0x1800, v0
	ds_read2_b32 v[6:7], v0 offset1:125
	ds_read2_b32 v[8:9], v8 offset0:2 offset1:252
	ds_read2_b32 v[11:12], v11 offset0:95 offset1:220
	;; [unrolled: 1-line block ×3, first 2 shown]
	ds_read_b32 v22, v35 offset:1500
	ds_read_b32 v23, v0 offset:7500
	s_waitcnt lgkmcnt(0)
	s_barrier
	ds_write2_b32 v46, v38, v25 offset1:25
	ds_write2_b32 v46, v45, v44 offset0:50 offset1:75
	ds_write_b32 v46, v51 offset:400
	ds_write2_b32 v48, v52, v26 offset1:25
	ds_write2_b32 v48, v28, v13 offset0:50 offset1:75
	ds_write_b32 v48, v53 offset:400
	;; [unrolled: 3-line block ×3, first 2 shown]
	s_and_saveexec_b64 s[4:5], vcc
	s_cbranch_execz .LBB0_35
; %bb.34:
	v_add_f32_e32 v13, v37, v40
	v_fma_f32 v13, -0.5, v13, v39
	v_sub_f32_e32 v24, v49, v47
	v_mov_b32_e32 v25, v13
	v_fmac_f32_e32 v25, 0xbf737871, v24
	v_sub_f32_e32 v26, v42, v43
	v_sub_f32_e32 v27, v36, v37
	;; [unrolled: 1-line block ×3, first 2 shown]
	v_fmac_f32_e32 v13, 0x3f737871, v24
	v_fmac_f32_e32 v25, 0xbf167918, v26
	v_add_f32_e32 v27, v27, v28
	v_fmac_f32_e32 v13, 0x3f167918, v26
	v_fmac_f32_e32 v25, 0x3e9e377a, v27
	;; [unrolled: 1-line block ×3, first 2 shown]
	v_add_f32_e32 v27, v36, v34
	v_add_f32_e32 v10, v39, v36
	v_fmac_f32_e32 v39, -0.5, v27
	v_add_f32_e32 v10, v10, v37
	v_mov_b32_e32 v27, v39
	v_add_f32_e32 v10, v10, v40
	v_fmac_f32_e32 v27, 0x3f737871, v26
	v_sub_f32_e32 v28, v37, v36
	v_sub_f32_e32 v29, v40, v34
	v_fmac_f32_e32 v39, 0xbf737871, v26
	v_add_f32_e32 v10, v10, v34
	v_fmac_f32_e32 v27, 0xbf167918, v24
	v_add_f32_e32 v28, v28, v29
	v_fmac_f32_e32 v39, 0x3f167918, v24
	v_add_u32_e32 v24, 0x1c00, v41
	v_fmac_f32_e32 v27, 0x3e9e377a, v28
	v_fmac_f32_e32 v39, 0x3e9e377a, v28
	ds_write2_b32 v24, v10, v25 offset0:83 offset1:108
	ds_write2_b32 v24, v27, v39 offset0:133 offset1:158
	ds_write_b32 v41, v13 offset:7900
.LBB0_35:
	s_or_b64 exec, exec, s[4:5]
	s_waitcnt lgkmcnt(0)
	s_barrier
	s_and_saveexec_b64 s[4:5], s[0:1]
	s_cbranch_execz .LBB0_37
; %bb.36:
	v_mul_u32_u24_e32 v10, 15, v59
	v_lshlrev_b32_e32 v10, 3, v10
	global_load_dwordx4 v[24:27], v10, s[12:13] offset:960
	global_load_dwordx4 v[28:31], v10, s[12:13] offset:1024
	;; [unrolled: 1-line block ×7, first 2 shown]
	global_load_dwordx2 v[32:33], v10, s[12:13] offset:1072
	v_mul_lo_u32 v10, s3, v3
	v_mul_lo_u32 v13, s2, v4
	v_mad_u64_u32 v[3:4], s[0:1], s2, v3, 0
	v_add_u32_e32 v34, 0x3e0, v0
	v_add_u32_e32 v58, 0x1000, v0
	;; [unrolled: 1-line block ×6, first 2 shown]
	ds_read2_b32 v[56:57], v0 offset1:125
	ds_read_b32 v68, v35 offset:1500
	ds_read_b32 v0, v0 offset:7500
	ds_read2_b32 v[34:35], v34 offset0:2 offset1:252
	ds_read2_b32 v[58:59], v58 offset0:101 offset1:226
	;; [unrolled: 1-line block ×6, first 2 shown]
	v_add3_u32 v4, v4, v13, v10
	v_lshlrev_b64 v[3:4], 3, v[3:4]
	s_movk_i32 s0, 0x1000
	v_add_co_u32_e32 v3, vcc, s10, v3
	s_waitcnt vmcnt(7) lgkmcnt(5)
	v_mul_f32_e32 v10, v34, v27
	s_waitcnt vmcnt(6) lgkmcnt(4)
	v_mul_f32_e32 v13, v59, v31
	s_waitcnt vmcnt(5)
	v_mul_f32_e32 v74, v20, v37
	s_waitcnt lgkmcnt(3)
	v_mul_f32_e32 v37, v60, v37
	s_waitcnt vmcnt(4)
	v_mul_f32_e32 v75, v18, v41
	v_mul_f32_e32 v69, v21, v39
	v_mul_f32_e32 v39, v61, v39
	v_mul_f32_e32 v27, v8, v27
	v_fmac_f32_e32 v74, v60, v36
	v_fma_f32 v20, v20, v36, -v37
	s_waitcnt vmcnt(2) lgkmcnt(1)
	v_mul_f32_e32 v36, v64, v49
	v_fmac_f32_e32 v75, v62, v40
	v_mul_f32_e32 v41, v62, v41
	v_fma_f32 v62, v8, v26, -v10
	v_fma_f32 v8, v17, v30, -v13
	v_mul_f32_e32 v31, v17, v31
	v_fma_f32 v21, v21, v38, -v39
	v_mul_f32_e32 v39, v57, v25
	v_fmac_f32_e32 v27, v26, v34
	v_fma_f32 v26, v11, v48, -v36
	v_fma_f32 v18, v18, v40, -v41
	v_sub_f32_e32 v36, v62, v8
	s_waitcnt vmcnt(1) lgkmcnt(0)
	v_mul_f32_e32 v8, v66, v53
	v_mul_f32_e32 v37, v14, v53
	v_fmac_f32_e32 v31, v30, v59
	v_fma_f32 v30, v7, v24, -v39
	v_fma_f32 v14, v14, v52, -v8
	v_mul_f32_e32 v8, v11, v49
	v_sub_f32_e32 v11, v20, v18
	v_mul_f32_e32 v18, v7, v25
	v_mul_f32_e32 v7, v16, v29
	v_fmac_f32_e32 v69, v61, v38
	v_mul_f32_e32 v61, v58, v29
	v_fmac_f32_e32 v18, v24, v57
	v_fmac_f32_e32 v7, v28, v58
	v_fma_f32 v34, v16, v28, -v61
	v_sub_f32_e32 v16, v18, v7
	v_mul_f32_e32 v7, v67, v55
	v_fma_f32 v7, v15, v54, -v7
	v_mul_f32_e32 v70, v19, v43
	v_mul_f32_e32 v43, v63, v43
	;; [unrolled: 1-line block ×4, first 2 shown]
	v_sub_f32_e32 v15, v6, v7
	v_mul_f32_e32 v28, v9, v47
	v_mul_f32_e32 v7, v12, v51
	;; [unrolled: 1-line block ×4, first 2 shown]
	s_waitcnt vmcnt(0)
	v_mul_f32_e32 v38, v23, v33
	v_fma_f32 v10, v19, v42, -v43
	v_fma_f32 v19, v22, v44, -v60
	v_mul_f32_e32 v22, v22, v45
	v_fmac_f32_e32 v28, v46, v35
	v_fmac_f32_e32 v7, v50, v65
	;; [unrolled: 1-line block ×3, first 2 shown]
	v_fma_f32 v13, v9, v46, -v71
	v_fma_f32 v17, v12, v50, -v72
	v_fmac_f32_e32 v73, v67, v54
	v_fmac_f32_e32 v37, v66, v52
	;; [unrolled: 1-line block ×3, first 2 shown]
	v_sub_f32_e32 v34, v30, v34
	v_sub_f32_e32 v63, v74, v75
	v_mul_f32_e32 v0, v0, v33
	v_fmac_f32_e32 v22, v44, v68
	v_fmac_f32_e32 v8, v48, v64
	v_sub_f32_e32 v12, v28, v7
	v_sub_f32_e32 v39, v69, v70
	;; [unrolled: 1-line block ×7, first 2 shown]
	v_fma_f32 v0, v23, v32, -v0
	v_sub_f32_e32 v23, v22, v8
	v_add_f32_e32 v24, v16, v11
	v_sub_f32_e32 v29, v15, v12
	v_fma_f32 v30, v30, 2.0, -v34
	v_fma_f32 v11, v20, 2.0, -v11
	v_sub_f32_e32 v40, v21, v10
	v_sub_f32_e32 v31, v27, v31
	;; [unrolled: 1-line block ×3, first 2 shown]
	v_add_f32_e32 v59, v17, v41
	v_sub_f32_e32 v60, v26, v38
	v_mov_b32_e32 v71, v70
	v_sub_f32_e32 v0, v14, v0
	v_mov_b32_e32 v33, v29
	v_sub_f32_e32 v45, v30, v11
	v_fma_f32 v46, v22, 2.0, -v23
	v_fma_f32 v11, v37, 2.0, -v38
	v_add_f32_e32 v43, v31, v40
	v_mov_b32_e32 v61, v59
	v_fmac_f32_e32 v71, 0x3f3504f3, v60
	v_add_f32_e32 v32, v23, v0
	v_mov_b32_e32 v25, v24
	v_fmac_f32_e32 v33, 0x3f3504f3, v42
	v_sub_f32_e32 v37, v46, v11
	v_fma_f32 v47, v18, 2.0, -v16
	v_fma_f32 v11, v74, 2.0, -v63
	;; [unrolled: 1-line block ×3, first 2 shown]
	v_fmac_f32_e32 v61, 0x3f3504f3, v43
	v_fmac_f32_e32 v71, 0xbf3504f3, v32
	;; [unrolled: 1-line block ×4, first 2 shown]
	v_fma_f32 v35, v62, 2.0, -v36
	v_fma_f32 v21, v21, 2.0, -v40
	;; [unrolled: 1-line block ×3, first 2 shown]
	v_sub_f32_e32 v48, v47, v11
	v_fma_f32 v11, v13, 2.0, -v17
	v_fma_f32 v17, v36, 2.0, -v42
	;; [unrolled: 1-line block ×4, first 2 shown]
	v_mov_b32_e32 v41, v34
	v_fma_f32 v23, v23, 2.0, -v32
	v_fma_f32 v32, v16, 2.0, -v24
	v_fmac_f32_e32 v61, 0x3f3504f3, v42
	v_mov_b32_e32 v7, v33
	v_fmac_f32_e32 v41, 0xbf3504f3, v18
	v_mov_b32_e32 v42, v32
	;; [unrolled: 2-line block ×3, first 2 shown]
	v_fmac_f32_e32 v7, 0x3f6c835e, v71
	v_fmac_f32_e32 v41, 0xbf3504f3, v23
	;; [unrolled: 1-line block ×3, first 2 shown]
	v_fma_f32 v23, v59, 2.0, -v61
	v_fmac_f32_e32 v8, 0x3f6c835e, v25
	v_fmac_f32_e32 v7, 0xbec3ef15, v25
	v_fma_f32 v25, v24, 2.0, -v25
	v_mov_b32_e32 v24, v23
	v_fma_f32 v53, v30, 2.0, -v45
	v_fma_f32 v30, v70, 2.0, -v71
	v_fmac_f32_e32 v24, 0xbec3ef15, v25
	v_fma_f32 v20, v27, 2.0, -v31
	v_fma_f32 v31, v31, 2.0, -v43
	;; [unrolled: 1-line block ×3, first 2 shown]
	v_fmac_f32_e32 v24, 0x3f6c835e, v30
	v_fma_f32 v29, v29, 2.0, -v33
	v_fma_f32 v12, v28, 2.0, -v12
	;; [unrolled: 1-line block ×4, first 2 shown]
	v_mov_b32_e32 v23, v29
	v_sub_f32_e32 v21, v35, v21
	v_sub_f32_e32 v28, v40, v12
	v_fma_f32 v0, v14, 2.0, -v0
	v_fma_f32 v6, v6, 2.0, -v15
	v_fmac_f32_e32 v23, 0xbec3ef15, v30
	v_add_f32_e32 v44, v21, v28
	v_sub_f32_e32 v0, v19, v0
	v_sub_f32_e32 v50, v6, v11
	v_fma_f32 v11, v69, 2.0, -v39
	v_fmac_f32_e32 v23, 0xbf6c835e, v25
	v_add_f32_e32 v49, v0, v48
	v_sub_f32_e32 v22, v20, v11
	v_mov_b32_e32 v51, v43
	v_fma_f32 v25, v29, 2.0, -v23
	v_fma_f32 v29, v28, 2.0, -v44
	;; [unrolled: 1-line block ×3, first 2 shown]
	v_sub_f32_e32 v38, v45, v37
	v_sub_f32_e32 v27, v50, v22
	v_mov_b32_e32 v39, v36
	v_fmac_f32_e32 v51, 0xbf3504f3, v17
	v_fma_f32 v40, v40, 2.0, -v28
	v_fma_f32 v33, v48, 2.0, -v49
	v_mov_b32_e32 v28, v29
	v_mov_b32_e32 v11, v27
	v_fmac_f32_e32 v39, 0xbf3504f3, v31
	v_fmac_f32_e32 v51, 0xbf3504f3, v31
	v_fma_f32 v31, v45, 2.0, -v38
	v_fmac_f32_e32 v28, 0xbf3504f3, v33
	v_fmac_f32_e32 v11, 0x3f3504f3, v38
	;; [unrolled: 1-line block ×4, first 2 shown]
	v_fma_f32 v30, v29, 2.0, -v28
	v_fma_f32 v29, v50, 2.0, -v27
	;; [unrolled: 1-line block ×3, first 2 shown]
	v_fmac_f32_e32 v39, 0x3f3504f3, v17
	v_fma_f32 v0, v19, 2.0, -v0
	v_fma_f32 v6, v6, 2.0, -v50
	;; [unrolled: 1-line block ×3, first 2 shown]
	v_mov_b32_e32 v27, v29
	v_fmac_f32_e32 v42, 0x3f3504f3, v18
	v_fma_f32 v20, v20, 2.0, -v22
	v_sub_f32_e32 v35, v6, v19
	v_fma_f32 v47, v47, 2.0, -v48
	v_fma_f32 v19, v46, 2.0, -v37
	v_fmac_f32_e32 v27, 0xbf3504f3, v31
	v_fma_f32 v31, v36, 2.0, -v39
	v_mov_b32_e32 v12, v44
	v_sub_f32_e32 v52, v40, v20
	v_sub_f32_e32 v0, v53, v0
	;; [unrolled: 1-line block ×3, first 2 shown]
	v_fma_f32 v36, v32, 2.0, -v42
	v_mov_b32_e32 v32, v31
	v_fmac_f32_e32 v12, 0x3f3504f3, v49
	v_add_f32_e32 v20, v52, v0
	v_sub_f32_e32 v19, v35, v37
	v_fmac_f32_e32 v27, 0xbf3504f3, v33
	v_fma_f32 v33, v34, 2.0, -v41
	v_fmac_f32_e32 v32, 0xbf6c835e, v36
	v_fma_f32 v6, v6, 2.0, -v35
	v_fma_f32 v0, v53, 2.0, -v0
	v_fmac_f32_e32 v12, 0x3f3504f3, v38
	v_fma_f32 v21, v35, 2.0, -v19
	v_fmac_f32_e32 v32, 0x3ec3ef15, v33
	v_fma_f32 v38, v43, 2.0, -v51
	v_sub_f32_e32 v35, v6, v0
	v_mov_b32_e32 v0, s11
	v_fma_f32 v34, v31, 2.0, -v32
	v_mov_b32_e32 v31, v38
	v_addc_co_u32_e32 v4, vcc, v0, v4, vcc
	v_lshlrev_b64 v[0:1], 3, v[1:2]
	v_fmac_f32_e32 v31, 0xbf6c835e, v33
	v_fmac_f32_e32 v31, 0xbec3ef15, v36
	v_fma_f32 v36, v47, 2.0, -v37
	v_fma_f32 v37, v6, 2.0, -v35
	v_mov_b32_e32 v6, 0
	v_add_co_u32_e32 v2, vcc, v3, v0
	v_addc_co_u32_e32 v3, vcc, v4, v1, vcc
	v_lshlrev_b64 v[0:1], 3, v[5:6]
	v_mov_b32_e32 v16, v39
	v_mov_b32_e32 v15, v51
	v_add_co_u32_e32 v0, vcc, v2, v0
	v_fmac_f32_e32 v16, 0x3ec3ef15, v42
	v_fmac_f32_e32 v15, 0x3ec3ef15, v41
	v_fma_f32 v33, v38, 2.0, -v31
	v_fma_f32 v38, v40, 2.0, -v52
	v_addc_co_u32_e32 v1, vcc, v3, v1, vcc
	v_fmac_f32_e32 v16, 0x3f6c835e, v41
	v_fmac_f32_e32 v15, 0xbf6c835e, v42
	v_sub_f32_e32 v36, v38, v36
	v_add_co_u32_e32 v2, vcc, s0, v0
	v_fmac_f32_e32 v8, 0x3ec3ef15, v71
	v_fma_f32 v18, v39, 2.0, -v16
	v_fma_f32 v17, v51, 2.0, -v15
	;; [unrolled: 1-line block ×3, first 2 shown]
	v_addc_co_u32_e32 v3, vcc, 0, v1, vcc
	s_movk_i32 s0, 0x2000
	v_fma_f32 v10, v61, 2.0, -v8
	v_fma_f32 v14, v44, 2.0, -v12
	;; [unrolled: 1-line block ×4, first 2 shown]
	global_store_dwordx2 v[0:1], v[37:38], off
	global_store_dwordx2 v[0:1], v[33:34], off offset:1000
	global_store_dwordx2 v[0:1], v[29:30], off offset:2000
	;; [unrolled: 1-line block ×8, first 2 shown]
	v_add_co_u32_e32 v2, vcc, s0, v0
	v_addc_co_u32_e32 v3, vcc, 0, v1, vcc
	v_add_co_u32_e32 v0, vcc, 0x3000, v0
	v_addc_co_u32_e32 v1, vcc, 0, v1, vcc
	global_store_dwordx2 v[2:3], v[31:32], off offset:808
	global_store_dwordx2 v[2:3], v[27:28], off offset:1808
	;; [unrolled: 1-line block ×7, first 2 shown]
.LBB0_37:
	s_endpgm
	.section	.rodata,"a",@progbits
	.p2align	6, 0x0
	.amdhsa_kernel fft_rtc_fwd_len2000_factors_5_5_5_16_wgs_125_tpt_125_halfLds_sp_op_CI_CI_unitstride_sbrr_dirReg
		.amdhsa_group_segment_fixed_size 0
		.amdhsa_private_segment_fixed_size 0
		.amdhsa_kernarg_size 104
		.amdhsa_user_sgpr_count 6
		.amdhsa_user_sgpr_private_segment_buffer 1
		.amdhsa_user_sgpr_dispatch_ptr 0
		.amdhsa_user_sgpr_queue_ptr 0
		.amdhsa_user_sgpr_kernarg_segment_ptr 1
		.amdhsa_user_sgpr_dispatch_id 0
		.amdhsa_user_sgpr_flat_scratch_init 0
		.amdhsa_user_sgpr_private_segment_size 0
		.amdhsa_uses_dynamic_stack 0
		.amdhsa_system_sgpr_private_segment_wavefront_offset 0
		.amdhsa_system_sgpr_workgroup_id_x 1
		.amdhsa_system_sgpr_workgroup_id_y 0
		.amdhsa_system_sgpr_workgroup_id_z 0
		.amdhsa_system_sgpr_workgroup_info 0
		.amdhsa_system_vgpr_workitem_id 0
		.amdhsa_next_free_vgpr 78
		.amdhsa_next_free_sgpr 28
		.amdhsa_reserve_vcc 1
		.amdhsa_reserve_flat_scratch 0
		.amdhsa_float_round_mode_32 0
		.amdhsa_float_round_mode_16_64 0
		.amdhsa_float_denorm_mode_32 3
		.amdhsa_float_denorm_mode_16_64 3
		.amdhsa_dx10_clamp 1
		.amdhsa_ieee_mode 1
		.amdhsa_fp16_overflow 0
		.amdhsa_exception_fp_ieee_invalid_op 0
		.amdhsa_exception_fp_denorm_src 0
		.amdhsa_exception_fp_ieee_div_zero 0
		.amdhsa_exception_fp_ieee_overflow 0
		.amdhsa_exception_fp_ieee_underflow 0
		.amdhsa_exception_fp_ieee_inexact 0
		.amdhsa_exception_int_div_zero 0
	.end_amdhsa_kernel
	.text
.Lfunc_end0:
	.size	fft_rtc_fwd_len2000_factors_5_5_5_16_wgs_125_tpt_125_halfLds_sp_op_CI_CI_unitstride_sbrr_dirReg, .Lfunc_end0-fft_rtc_fwd_len2000_factors_5_5_5_16_wgs_125_tpt_125_halfLds_sp_op_CI_CI_unitstride_sbrr_dirReg
                                        ; -- End function
	.section	.AMDGPU.csdata,"",@progbits
; Kernel info:
; codeLenInByte = 10572
; NumSgprs: 32
; NumVgprs: 78
; ScratchSize: 0
; MemoryBound: 0
; FloatMode: 240
; IeeeMode: 1
; LDSByteSize: 0 bytes/workgroup (compile time only)
; SGPRBlocks: 3
; VGPRBlocks: 19
; NumSGPRsForWavesPerEU: 32
; NumVGPRsForWavesPerEU: 78
; Occupancy: 3
; WaveLimiterHint : 1
; COMPUTE_PGM_RSRC2:SCRATCH_EN: 0
; COMPUTE_PGM_RSRC2:USER_SGPR: 6
; COMPUTE_PGM_RSRC2:TRAP_HANDLER: 0
; COMPUTE_PGM_RSRC2:TGID_X_EN: 1
; COMPUTE_PGM_RSRC2:TGID_Y_EN: 0
; COMPUTE_PGM_RSRC2:TGID_Z_EN: 0
; COMPUTE_PGM_RSRC2:TIDIG_COMP_CNT: 0
	.type	__hip_cuid_a56bd916a1bddfd6,@object ; @__hip_cuid_a56bd916a1bddfd6
	.section	.bss,"aw",@nobits
	.globl	__hip_cuid_a56bd916a1bddfd6
__hip_cuid_a56bd916a1bddfd6:
	.byte	0                               ; 0x0
	.size	__hip_cuid_a56bd916a1bddfd6, 1

	.ident	"AMD clang version 19.0.0git (https://github.com/RadeonOpenCompute/llvm-project roc-6.4.0 25133 c7fe45cf4b819c5991fe208aaa96edf142730f1d)"
	.section	".note.GNU-stack","",@progbits
	.addrsig
	.addrsig_sym __hip_cuid_a56bd916a1bddfd6
	.amdgpu_metadata
---
amdhsa.kernels:
  - .args:
      - .actual_access:  read_only
        .address_space:  global
        .offset:         0
        .size:           8
        .value_kind:     global_buffer
      - .offset:         8
        .size:           8
        .value_kind:     by_value
      - .actual_access:  read_only
        .address_space:  global
        .offset:         16
        .size:           8
        .value_kind:     global_buffer
      - .actual_access:  read_only
        .address_space:  global
        .offset:         24
        .size:           8
        .value_kind:     global_buffer
      - .actual_access:  read_only
        .address_space:  global
        .offset:         32
        .size:           8
        .value_kind:     global_buffer
      - .offset:         40
        .size:           8
        .value_kind:     by_value
      - .actual_access:  read_only
        .address_space:  global
        .offset:         48
        .size:           8
        .value_kind:     global_buffer
      - .actual_access:  read_only
        .address_space:  global
        .offset:         56
        .size:           8
        .value_kind:     global_buffer
      - .offset:         64
        .size:           4
        .value_kind:     by_value
      - .actual_access:  read_only
        .address_space:  global
        .offset:         72
        .size:           8
        .value_kind:     global_buffer
      - .actual_access:  read_only
        .address_space:  global
        .offset:         80
        .size:           8
        .value_kind:     global_buffer
      - .actual_access:  read_only
        .address_space:  global
        .offset:         88
        .size:           8
        .value_kind:     global_buffer
      - .actual_access:  write_only
        .address_space:  global
        .offset:         96
        .size:           8
        .value_kind:     global_buffer
    .group_segment_fixed_size: 0
    .kernarg_segment_align: 8
    .kernarg_segment_size: 104
    .language:       OpenCL C
    .language_version:
      - 2
      - 0
    .max_flat_workgroup_size: 125
    .name:           fft_rtc_fwd_len2000_factors_5_5_5_16_wgs_125_tpt_125_halfLds_sp_op_CI_CI_unitstride_sbrr_dirReg
    .private_segment_fixed_size: 0
    .sgpr_count:     32
    .sgpr_spill_count: 0
    .symbol:         fft_rtc_fwd_len2000_factors_5_5_5_16_wgs_125_tpt_125_halfLds_sp_op_CI_CI_unitstride_sbrr_dirReg.kd
    .uniform_work_group_size: 1
    .uses_dynamic_stack: false
    .vgpr_count:     78
    .vgpr_spill_count: 0
    .wavefront_size: 64
amdhsa.target:   amdgcn-amd-amdhsa--gfx906
amdhsa.version:
  - 1
  - 2
...

	.end_amdgpu_metadata
